;; amdgpu-corpus repo=ROCm/rocFFT kind=compiled arch=gfx950 opt=O3
	.text
	.amdgcn_target "amdgcn-amd-amdhsa--gfx950"
	.amdhsa_code_object_version 6
	.protected	fft_rtc_back_len1326_factors_17_6_13_wgs_204_tpt_102_halfLds_sp_ip_CI_unitstride_sbrr_dirReg ; -- Begin function fft_rtc_back_len1326_factors_17_6_13_wgs_204_tpt_102_halfLds_sp_ip_CI_unitstride_sbrr_dirReg
	.globl	fft_rtc_back_len1326_factors_17_6_13_wgs_204_tpt_102_halfLds_sp_ip_CI_unitstride_sbrr_dirReg
	.p2align	8
	.type	fft_rtc_back_len1326_factors_17_6_13_wgs_204_tpt_102_halfLds_sp_ip_CI_unitstride_sbrr_dirReg,@function
fft_rtc_back_len1326_factors_17_6_13_wgs_204_tpt_102_halfLds_sp_ip_CI_unitstride_sbrr_dirReg: ; @fft_rtc_back_len1326_factors_17_6_13_wgs_204_tpt_102_halfLds_sp_ip_CI_unitstride_sbrr_dirReg
; %bb.0:
	s_load_dwordx2 s[8:9], s[0:1], 0x50
	s_load_dwordx4 s[4:7], s[0:1], 0x0
	s_load_dwordx2 s[10:11], s[0:1], 0x18
	v_mul_u32_u24_e32 v1, 0x283, v0
	v_lshrrev_b32_e32 v78, 16, v1
	v_lshl_add_u32 v6, s2, 1, v78
	v_mov_b32_e32 v4, 0
	s_waitcnt lgkmcnt(0)
	v_cmp_lt_u64_e64 s[2:3], s[6:7], 2
	v_mov_b32_e32 v7, v4
	s_and_b64 vcc, exec, s[2:3]
	v_mov_b64_e32 v[2:3], 0
	s_cbranch_vccnz .LBB0_8
; %bb.1:
	s_load_dwordx2 s[2:3], s[0:1], 0x10
	s_add_u32 s12, s10, 8
	s_addc_u32 s13, s11, 0
	s_mov_b64 s[14:15], 1
	v_mov_b64_e32 v[2:3], 0
	s_waitcnt lgkmcnt(0)
	s_add_u32 s16, s2, 8
	s_addc_u32 s17, s3, 0
.LBB0_2:                                ; =>This Inner Loop Header: Depth=1
	s_load_dwordx2 s[18:19], s[16:17], 0x0
                                        ; implicit-def: $vgpr8_vgpr9
	s_waitcnt lgkmcnt(0)
	v_or_b32_e32 v5, s19, v7
	v_cmp_ne_u64_e32 vcc, 0, v[4:5]
	s_and_saveexec_b64 s[2:3], vcc
	s_xor_b64 s[20:21], exec, s[2:3]
	s_cbranch_execz .LBB0_4
; %bb.3:                                ;   in Loop: Header=BB0_2 Depth=1
	v_cvt_f32_u32_e32 v1, s18
	v_cvt_f32_u32_e32 v5, s19
	s_sub_u32 s2, 0, s18
	s_subb_u32 s3, 0, s19
	v_fmac_f32_e32 v1, 0x4f800000, v5
	v_rcp_f32_e32 v1, v1
	s_nop 0
	v_mul_f32_e32 v1, 0x5f7ffffc, v1
	v_mul_f32_e32 v5, 0x2f800000, v1
	v_trunc_f32_e32 v5, v5
	v_fmac_f32_e32 v1, 0xcf800000, v5
	v_cvt_u32_f32_e32 v5, v5
	v_cvt_u32_f32_e32 v1, v1
	v_mul_lo_u32 v8, s2, v5
	v_mul_hi_u32 v10, s2, v1
	v_mul_lo_u32 v9, s3, v1
	v_add_u32_e32 v10, v10, v8
	v_mul_lo_u32 v12, s2, v1
	v_add_u32_e32 v13, v10, v9
	v_mul_hi_u32 v8, v1, v12
	v_mul_hi_u32 v11, v1, v13
	v_mul_lo_u32 v10, v1, v13
	v_mov_b32_e32 v9, v4
	v_lshl_add_u64 v[8:9], v[8:9], 0, v[10:11]
	v_mul_hi_u32 v11, v5, v12
	v_mul_lo_u32 v12, v5, v12
	v_add_co_u32_e32 v8, vcc, v8, v12
	v_mul_hi_u32 v10, v5, v13
	s_nop 0
	v_addc_co_u32_e32 v8, vcc, v9, v11, vcc
	v_mov_b32_e32 v9, v4
	s_nop 0
	v_addc_co_u32_e32 v11, vcc, 0, v10, vcc
	v_mul_lo_u32 v10, v5, v13
	v_lshl_add_u64 v[8:9], v[8:9], 0, v[10:11]
	v_add_co_u32_e32 v1, vcc, v1, v8
	v_mul_lo_u32 v10, s2, v1
	s_nop 0
	v_addc_co_u32_e32 v5, vcc, v5, v9, vcc
	v_mul_lo_u32 v8, s2, v5
	v_mul_hi_u32 v9, s2, v1
	v_add_u32_e32 v8, v9, v8
	v_mul_lo_u32 v9, s3, v1
	v_add_u32_e32 v12, v8, v9
	v_mul_hi_u32 v14, v5, v10
	v_mul_lo_u32 v15, v5, v10
	v_mul_hi_u32 v9, v1, v12
	v_mul_lo_u32 v8, v1, v12
	v_mul_hi_u32 v10, v1, v10
	v_mov_b32_e32 v11, v4
	v_lshl_add_u64 v[8:9], v[10:11], 0, v[8:9]
	v_add_co_u32_e32 v8, vcc, v8, v15
	v_mul_hi_u32 v13, v5, v12
	s_nop 0
	v_addc_co_u32_e32 v8, vcc, v9, v14, vcc
	v_mul_lo_u32 v10, v5, v12
	s_nop 0
	v_addc_co_u32_e32 v11, vcc, 0, v13, vcc
	v_mov_b32_e32 v9, v4
	v_lshl_add_u64 v[8:9], v[8:9], 0, v[10:11]
	v_add_co_u32_e32 v1, vcc, v1, v8
	v_mul_hi_u32 v10, v6, v1
	s_nop 0
	v_addc_co_u32_e32 v5, vcc, v5, v9, vcc
	v_mad_u64_u32 v[8:9], s[2:3], v6, v5, 0
	v_mov_b32_e32 v11, v4
	v_lshl_add_u64 v[8:9], v[10:11], 0, v[8:9]
	v_mad_u64_u32 v[12:13], s[2:3], v7, v1, 0
	v_add_co_u32_e32 v1, vcc, v8, v12
	v_mad_u64_u32 v[10:11], s[2:3], v7, v5, 0
	s_nop 0
	v_addc_co_u32_e32 v8, vcc, v9, v13, vcc
	v_mov_b32_e32 v9, v4
	s_nop 0
	v_addc_co_u32_e32 v11, vcc, 0, v11, vcc
	v_lshl_add_u64 v[8:9], v[8:9], 0, v[10:11]
	v_mul_lo_u32 v1, s19, v8
	v_mul_lo_u32 v5, s18, v9
	v_mad_u64_u32 v[10:11], s[2:3], s18, v8, 0
	v_add3_u32 v1, v11, v5, v1
	v_sub_u32_e32 v5, v7, v1
	v_mov_b32_e32 v11, s19
	v_sub_co_u32_e32 v14, vcc, v6, v10
	v_lshl_add_u64 v[12:13], v[8:9], 0, 1
	s_nop 0
	v_subb_co_u32_e64 v5, s[2:3], v5, v11, vcc
	v_subrev_co_u32_e64 v10, s[2:3], s18, v14
	v_subb_co_u32_e32 v1, vcc, v7, v1, vcc
	s_nop 0
	v_subbrev_co_u32_e64 v5, s[2:3], 0, v5, s[2:3]
	v_cmp_le_u32_e64 s[2:3], s19, v5
	v_cmp_le_u32_e32 vcc, s19, v1
	s_nop 0
	v_cndmask_b32_e64 v11, 0, -1, s[2:3]
	v_cmp_le_u32_e64 s[2:3], s18, v10
	s_nop 1
	v_cndmask_b32_e64 v10, 0, -1, s[2:3]
	v_cmp_eq_u32_e64 s[2:3], s19, v5
	s_nop 1
	v_cndmask_b32_e64 v5, v11, v10, s[2:3]
	v_lshl_add_u64 v[10:11], v[8:9], 0, 2
	v_cmp_ne_u32_e64 s[2:3], 0, v5
	s_nop 1
	v_cndmask_b32_e64 v5, v13, v11, s[2:3]
	v_cndmask_b32_e64 v11, 0, -1, vcc
	v_cmp_le_u32_e32 vcc, s18, v14
	s_nop 1
	v_cndmask_b32_e64 v13, 0, -1, vcc
	v_cmp_eq_u32_e32 vcc, s19, v1
	s_nop 1
	v_cndmask_b32_e32 v1, v11, v13, vcc
	v_cmp_ne_u32_e32 vcc, 0, v1
	v_cndmask_b32_e64 v1, v12, v10, s[2:3]
	s_nop 0
	v_cndmask_b32_e32 v9, v9, v5, vcc
	v_cndmask_b32_e32 v8, v8, v1, vcc
.LBB0_4:                                ;   in Loop: Header=BB0_2 Depth=1
	s_andn2_saveexec_b64 s[2:3], s[20:21]
	s_cbranch_execz .LBB0_6
; %bb.5:                                ;   in Loop: Header=BB0_2 Depth=1
	v_cvt_f32_u32_e32 v1, s18
	s_sub_i32 s20, 0, s18
	v_rcp_iflag_f32_e32 v1, v1
	s_nop 0
	v_mul_f32_e32 v1, 0x4f7ffffe, v1
	v_cvt_u32_f32_e32 v1, v1
	v_mul_lo_u32 v5, s20, v1
	v_mul_hi_u32 v5, v1, v5
	v_add_u32_e32 v1, v1, v5
	v_mul_hi_u32 v1, v6, v1
	v_mul_lo_u32 v5, v1, s18
	v_sub_u32_e32 v5, v6, v5
	v_add_u32_e32 v8, 1, v1
	v_subrev_u32_e32 v9, s18, v5
	v_cmp_le_u32_e32 vcc, s18, v5
	s_nop 1
	v_cndmask_b32_e32 v5, v5, v9, vcc
	v_cndmask_b32_e32 v1, v1, v8, vcc
	v_add_u32_e32 v8, 1, v1
	v_cmp_le_u32_e32 vcc, s18, v5
	v_mov_b32_e32 v9, v4
	s_nop 0
	v_cndmask_b32_e32 v8, v1, v8, vcc
.LBB0_6:                                ;   in Loop: Header=BB0_2 Depth=1
	s_or_b64 exec, exec, s[2:3]
	v_mad_u64_u32 v[10:11], s[2:3], v8, s18, 0
	s_load_dwordx2 s[2:3], s[12:13], 0x0
	v_mul_lo_u32 v1, v9, s18
	v_mul_lo_u32 v5, v8, s19
	v_add3_u32 v1, v11, v5, v1
	v_sub_co_u32_e32 v5, vcc, v6, v10
	s_add_u32 s14, s14, 1
	s_nop 0
	v_subb_co_u32_e32 v1, vcc, v7, v1, vcc
	s_addc_u32 s15, s15, 0
	s_waitcnt lgkmcnt(0)
	v_mul_lo_u32 v1, s2, v1
	v_mul_lo_u32 v6, s3, v5
	v_mad_u64_u32 v[2:3], s[2:3], s2, v5, v[2:3]
	s_add_u32 s12, s12, 8
	v_add3_u32 v3, v6, v3, v1
	s_addc_u32 s13, s13, 0
	v_mov_b64_e32 v[6:7], s[6:7]
	s_add_u32 s16, s16, 8
	v_cmp_ge_u64_e32 vcc, s[14:15], v[6:7]
	s_addc_u32 s17, s17, 0
	s_cbranch_vccnz .LBB0_9
; %bb.7:                                ;   in Loop: Header=BB0_2 Depth=1
	v_mov_b64_e32 v[6:7], v[8:9]
	s_branch .LBB0_2
.LBB0_8:
	v_mov_b64_e32 v[8:9], v[6:7]
.LBB0_9:
	s_lshl_b64 s[2:3], s[6:7], 3
	s_add_u32 s2, s10, s2
	s_addc_u32 s3, s11, s3
	s_load_dwordx2 s[6:7], s[2:3], 0x0
	s_load_dwordx2 s[10:11], s[0:1], 0x20
	s_mov_b32 s2, 0x2828283
	v_mov_b32_e32 v13, 0
	v_mov_b32_e32 v65, 0
	s_waitcnt lgkmcnt(0)
	v_mul_lo_u32 v1, s6, v9
	v_mul_lo_u32 v4, s7, v8
	v_mad_u64_u32 v[2:3], s[0:1], s6, v8, v[2:3]
	v_add3_u32 v3, v4, v3, v1
	v_mul_hi_u32 v1, v0, s2
	v_mul_u32_u24_e32 v1, 0x66, v1
	v_cmp_gt_u64_e64 s[0:1], s[10:11], v[8:9]
	v_sub_u32_e32 v0, v0, v1
	v_mov_b32_e32 v4, 0
                                        ; implicit-def: $vgpr36
                                        ; implicit-def: $vgpr38
                                        ; implicit-def: $vgpr30
                                        ; implicit-def: $vgpr42
                                        ; implicit-def: $vgpr40
                                        ; implicit-def: $vgpr32
                                        ; implicit-def: $vgpr34
                                        ; implicit-def: $vgpr28
                                        ; implicit-def: $vgpr10
                                        ; implicit-def: $vgpr16
                                        ; implicit-def: $vgpr18
                                        ; implicit-def: $vgpr20
                                        ; implicit-def: $vgpr24
                                        ; implicit-def: $vgpr22
                                        ; implicit-def: $vgpr26
	s_and_saveexec_b64 s[2:3], s[0:1]
	s_cbranch_execz .LBB0_13
; %bb.10:
	s_movk_i32 s6, 0x4e
	v_cmp_gt_u32_e32 vcc, s6, v0
	v_mov_b32_e32 v65, 0
	v_mov_b32_e32 v13, 0
                                        ; implicit-def: $vgpr27
                                        ; implicit-def: $vgpr23
                                        ; implicit-def: $vgpr25
                                        ; implicit-def: $vgpr21
                                        ; implicit-def: $vgpr19
                                        ; implicit-def: $vgpr17
                                        ; implicit-def: $vgpr11
                                        ; implicit-def: $vgpr29
                                        ; implicit-def: $vgpr35
                                        ; implicit-def: $vgpr33
                                        ; implicit-def: $vgpr41
                                        ; implicit-def: $vgpr43
                                        ; implicit-def: $vgpr31
                                        ; implicit-def: $vgpr39
                                        ; implicit-def: $vgpr37
	s_and_saveexec_b64 s[6:7], vcc
	s_cbranch_execz .LBB0_12
; %bb.11:
	v_mov_b32_e32 v1, 0
	v_lshl_add_u64 v[4:5], v[2:3], 3, s[8:9]
	v_lshl_add_u64 v[4:5], v[0:1], 3, v[4:5]
	v_add_co_u32_e32 v6, vcc, 0x1000, v4
	global_load_dwordx2 v[12:13], v[4:5], off
	global_load_dwordx2 v[36:37], v[4:5], off offset:624
	global_load_dwordx2 v[38:39], v[4:5], off offset:1248
	;; [unrolled: 1-line block ×3, first 2 shown]
	v_addc_co_u32_e32 v7, vcc, 0, v5, vcc
	global_load_dwordx2 v[42:43], v[4:5], off offset:2496
	global_load_dwordx2 v[40:41], v[4:5], off offset:3120
	;; [unrolled: 1-line block ×8, first 2 shown]
	v_add_co_u32_e32 v4, vcc, 0x2000, v4
	s_waitcnt vmcnt(11)
	v_mov_b32_e32 v65, v12
	v_addc_co_u32_e32 v5, vcc, 0, v5, vcc
	global_load_dwordx2 v[24:25], v[6:7], off offset:3392
	global_load_dwordx2 v[20:21], v[6:7], off offset:4016
	;; [unrolled: 1-line block ×5, first 2 shown]
	s_waitcnt vmcnt(7)
	v_mov_b32_e32 v64, v8
	v_mov_b32_e32 v12, v9
.LBB0_12:
	s_or_b64 exec, exec, s[6:7]
	v_mov_b32_e32 v4, v0
.LBB0_13:
	s_or_b64 exec, exec, s[2:3]
	s_mov_b32 s16, 0xbf2c7751
	s_waitcnt vmcnt(0)
	v_pk_add_f32 v[44:45], v[36:37], v[10:11] neg_lo:[0,1] neg_hi:[0,1]
	s_mov_b32 s17, 0xbeb8f4ab
	v_pk_add_f32 v[58:59], v[36:37], v[10:11]
	v_pk_add_f32 v[48:49], v[38:39], v[16:17] neg_lo:[0,1] neg_hi:[0,1]
	s_mov_b32 s14, 0x3f3d2fb0
	s_mov_b32 s15, 0x3f6eb680
	v_pk_mul_f32 v[6:7], v[44:45], s[16:17] op_sel:[1,0]
	s_mov_b32 s20, 0xbf7ee86f
	s_mov_b32 s21, s16
	v_pk_add_f32 v[60:61], v[38:39], v[16:17]
	v_pk_add_f32 v[46:47], v[30:31], v[18:19] neg_lo:[0,1] neg_hi:[0,1]
	s_mov_b32 s12, 0xbf1a4643
	s_mov_b32 s19, 0xbf65296c
	;; [unrolled: 1-line block ×3, first 2 shown]
	v_pk_fma_f32 v[8:9], v[58:59], s[14:15], v[6:7] op_sel_hi:[0,1,1] neg_lo:[0,0,1] neg_hi:[0,0,1]
	v_mov_b32_e32 v6, v65
	s_mov_b32 s7, s14
	v_pk_mul_f32 v[102:103], v[48:49], s[20:21] op_sel:[1,0]
	s_mov_b32 s18, 0xbf4c4adb
	v_pk_add_f32 v[62:63], v[30:31], v[18:19]
	s_mov_b32 s13, 0x3ee437d1
	v_pk_add_f32 v[8:9], v[6:7], v[8:9] op_sel_hi:[0,1]
	v_pk_fma_f32 v[14:15], v[60:61], s[6:7], v[102:103] op_sel_hi:[0,1,1] neg_lo:[0,0,1] neg_hi:[0,0,1]
	v_pk_mul_f32 v[104:105], v[46:47], s[18:19] op_sel:[1,0]
	s_mov_b32 s22, 0xbe3c28d5
	s_mov_b32 s23, s20
	v_pk_add_f32 v[50:51], v[42:43], v[20:21] neg_lo:[0,1] neg_hi:[0,1]
	v_pk_add_f32 v[8:9], v[8:9], v[14:15]
	v_pk_fma_f32 v[14:15], v[62:63], s[12:13], v[104:105] op_sel_hi:[0,1,1] neg_lo:[0,0,1] neg_hi:[0,0,1]
	s_mov_b32 s10, 0xbf7ba420
	s_mov_b32 s11, s6
	v_pk_add_f32 v[66:67], v[42:43], v[20:21]
	v_pk_mul_f32 v[106:107], v[50:51], s[22:23] op_sel:[1,0]
	s_mov_b32 s24, 0xbf59a7d5
	s_mov_b32 s37, 0xbf763a35
	;; [unrolled: 1-line block ×3, first 2 shown]
	v_pk_add_f32 v[52:53], v[40:41], v[24:25] neg_lo:[0,1] neg_hi:[0,1]
	v_pk_add_f32 v[8:9], v[8:9], v[14:15]
	v_pk_fma_f32 v[14:15], v[66:67], s[10:11], v[106:107] op_sel_hi:[0,1,1] neg_lo:[0,0,1] neg_hi:[0,0,1]
	s_mov_b32 s25, 0xbe8c1d8e
	v_pk_add_f32 v[68:69], v[40:41], v[24:25]
	v_pk_mul_f32 v[108:109], v[52:53], s[36:37] op_sel:[1,0]
	s_mov_b32 s30, 0x3f763a35
	s_mov_b32 s31, s18
	v_pk_add_f32 v[54:55], v[32:33], v[22:23] neg_lo:[0,1] neg_hi:[0,1]
	s_mov_b32 s28, 0x3f65296c
	v_pk_add_f32 v[8:9], v[8:9], v[14:15]
	v_pk_fma_f32 v[14:15], v[68:69], s[24:25], v[108:109] op_sel_hi:[0,1,1] neg_lo:[0,0,1] neg_hi:[0,0,1]
	s_mov_b32 s58, s25
	s_mov_b32 s59, s12
	v_pk_add_f32 v[70:71], v[32:33], v[22:23]
	v_pk_mul_f32 v[110:111], v[54:55], s[30:31] op_sel:[1,0]
	s_mov_b32 s29, 0xbf06c442
	v_pk_add_f32 v[56:57], v[34:35], v[26:27] neg_lo:[0,1] neg_hi:[0,1]
	v_pk_add_f32 v[8:9], v[8:9], v[14:15]
	v_pk_fma_f32 v[14:15], v[70:71], s[58:59], v[110:111] op_sel_hi:[0,1,1] neg_lo:[0,0,1] neg_hi:[0,0,1]
	s_mov_b32 s60, s13
	s_mov_b32 s61, s24
	v_pk_add_f32 v[72:73], v[34:35], v[26:27]
	v_pk_mul_f32 v[112:113], v[56:57], s[28:29] op_sel:[1,0]
	v_pk_add_f32 v[8:9], v[8:9], v[14:15]
	v_pk_fma_f32 v[14:15], v[72:73], s[60:61], v[112:113] op_sel_hi:[0,1,1] neg_lo:[0,0,1] neg_hi:[0,0,1]
	v_pk_add_f32 v[8:9], v[8:9], v[14:15]
	v_mov_b32_e32 v14, v29
	v_pk_add_f32 v[74:75], v[14:15], v[12:13] op_sel_hi:[0,1] neg_lo:[0,1] neg_hi:[0,1]
	s_mov_b32 s48, 0x3eb8f4ab
	s_mov_b32 s49, s22
	;; [unrolled: 1-line block ×4, first 2 shown]
	v_pk_add_f32 v[76:77], v[28:29], v[64:65]
	v_pk_mul_f32 v[114:115], v[74:75], s[48:49] op_sel_hi:[0,1]
	s_mov_b32 s21, s19
	v_pk_fma_f32 v[14:15], v[76:77], s[62:63], v[114:115] op_sel_hi:[0,1,1] neg_lo:[0,0,1] neg_hi:[0,0,1]
	s_mov_b32 s50, s6
	s_mov_b32 s51, s13
	v_pk_mul_f32 v[98:99], v[44:45], s[20:21] op_sel:[1,0]
	s_mov_b32 s23, s18
	v_pk_add_f32 v[8:9], v[8:9], v[14:15]
	v_pk_fma_f32 v[14:15], v[58:59], s[50:51], v[98:99] op_sel_hi:[0,1,1] neg_lo:[0,0,1] neg_hi:[0,0,1]
	s_mov_b32 s44, s10
	s_mov_b32 s45, s12
	v_pk_mul_f32 v[96:97], v[48:49], s[22:23] op_sel:[1,0]
	s_mov_b32 s31, 0x3e3c28d5
	v_pk_add_f32 v[14:15], v[6:7], v[14:15] op_sel_hi:[0,1]
	v_pk_fma_f32 v[80:81], v[60:61], s[44:45], v[96:97] op_sel_hi:[0,1,1] neg_lo:[0,0,1] neg_hi:[0,0,1]
	s_mov_b32 s38, s25
	s_mov_b32 s39, s10
	v_pk_mul_f32 v[94:95], v[46:47], s[30:31] op_sel:[1,0]
	s_mov_b32 s49, s30
	v_mul_f32_e32 v97, 0xbf763a35, v45
	v_pk_add_f32 v[14:15], v[14:15], v[80:81]
	v_pk_fma_f32 v[80:81], v[62:63], s[38:39], v[94:95] op_sel_hi:[0,1,1] neg_lo:[0,0,1] neg_hi:[0,0,1]
	s_mov_b32 s40, s15
	s_mov_b32 s41, s25
	v_pk_mul_f32 v[92:93], v[50:51], s[48:49] op_sel:[1,0]
	s_mov_b32 s53, 0x3f2c7751
	s_mov_b32 s52, s19
	v_fma_f32 v1, v58, s25, -v97
	v_mul_f32_e32 v95, 0x3f06c442, v49
	v_pk_add_f32 v[14:15], v[14:15], v[80:81]
	v_pk_fma_f32 v[80:81], v[66:67], s[40:41], v[92:93] op_sel_hi:[0,1,1] neg_lo:[0,0,1] neg_hi:[0,0,1]
	s_mov_b32 s42, s13
	s_mov_b32 s43, s14
	v_pk_mul_f32 v[90:91], v[52:53], s[52:53] op_sel:[1,0]
	s_mov_b32 s2, s29
	s_mov_b32 s3, s17
	v_add_f32_e32 v1, v65, v1
	v_fma_f32 v5, v60, s24, -v95
	v_mul_f32_e32 v93, 0x3f2c7751, v47
	v_pk_add_f32 v[14:15], v[14:15], v[80:81]
	v_pk_fma_f32 v[80:81], v[68:69], s[42:43], v[90:91] op_sel_hi:[0,1,1] neg_lo:[0,0,1] neg_hi:[0,0,1]
	s_mov_b32 s46, s24
	s_mov_b32 s47, s15
	v_pk_mul_f32 v[88:89], v[54:55], s[2:3] op_sel:[1,0]
	s_mov_b32 s34, 0x3f4c4adb
	s_mov_b32 s35, s20
	v_add_f32_e32 v1, v1, v5
	v_fma_f32 v5, v62, s14, -v93
	v_mul_f32_e32 v91, 0xbf65296c, v51
	v_pk_add_f32 v[14:15], v[14:15], v[80:81]
	v_pk_fma_f32 v[80:81], v[70:71], s[46:47], v[88:89] op_sel_hi:[0,1,1] neg_lo:[0,0,1] neg_hi:[0,0,1]
	s_mov_b32 s54, s12
	s_mov_b32 s55, s6
	v_pk_mul_f32 v[86:87], v[56:57], s[34:35] op_sel:[1,0]
	v_add_f32_e32 v1, v1, v5
	v_fma_f32 v5, v66, s13, -v91
	v_mul_f32_e32 v89, 0xbe3c28d5, v53
	v_pk_add_f32 v[14:15], v[14:15], v[80:81]
	v_pk_fma_f32 v[80:81], v[72:73], s[54:55], v[86:87] op_sel_hi:[0,1,1] neg_lo:[0,0,1] neg_hi:[0,0,1]
	v_add_f32_e32 v1, v1, v5
	v_fma_f32 v5, v68, s10, -v89
	v_mul_f32_e32 v87, 0x3f7ee86f, v55
	v_add_f32_e32 v1, v1, v5
	v_fma_f32 v5, v70, s6, -v87
	v_add_f32_e32 v1, v1, v5
	v_mul_f32_e32 v5, 0xbeb8f4ab, v57
	s_mov_b32 s2, s53
	s_mov_b32 s3, s29
	v_fma_f32 v6, v72, s15, -v5
	s_mov_b32 s56, s14
	s_mov_b32 s57, s24
	v_pk_mul_f32 v[84:85], v[74:75], s[2:3] op_sel_hi:[0,1]
	v_add_f32_e32 v1, v1, v6
	v_and_b32_e32 v6, 1, v78
	v_pk_add_f32 v[14:15], v[14:15], v[80:81]
	v_pk_fma_f32 v[80:81], v[76:77], s[56:57], v[84:85] op_sel_hi:[0,1,1] neg_lo:[0,0,1] neg_hi:[0,0,1]
	v_mov_b32_e32 v75, 0x52e
	v_cmp_eq_u32_e32 vcc, 1, v6
	v_mul_f32_e32 v85, 0xbf4c4adb, v74
	v_fma_f32 v6, v76, s12, -v85
	v_cndmask_b32_e32 v75, 0, v75, vcc
	s_movk_i32 s2, 0x4e
	v_pk_add_f32 v[14:15], v[14:15], v[80:81]
	s_mov_b32 s52, 0x3f7ee86f
	v_add_f32_e32 v6, v1, v6
	v_cmp_gt_u32_e64 s[2:3], s2, v0
	v_lshlrev_b32_e32 v1, 2, v75
	s_and_saveexec_b64 s[26:27], s[2:3]
	s_cbranch_execz .LBB0_15
; %bb.14:
	v_pk_mul_f32 v[118:119], v[60:61], s[6:7] op_sel_hi:[0,1]
	v_pk_add_f32 v[118:119], v[102:103], v[118:119]
	v_pk_mul_f32 v[102:103], v[62:63], s[12:13] op_sel_hi:[0,1]
	v_pk_add_f32 v[104:105], v[104:105], v[102:103]
	v_pk_mul_f32 v[102:103], v[66:67], s[10:11] op_sel_hi:[0,1]
	v_pk_add_f32 v[106:107], v[106:107], v[102:103]
	v_pk_mul_f32 v[102:103], v[68:69], s[24:25] op_sel_hi:[0,1]
	v_pk_add_f32 v[108:109], v[108:109], v[102:103]
	v_pk_mul_f32 v[102:103], v[70:71], s[58:59] op_sel_hi:[0,1]
	v_pk_add_f32 v[110:111], v[110:111], v[102:103]
	v_pk_mul_f32 v[102:103], v[72:73], s[60:61] op_sel_hi:[0,1]
	v_pk_add_f32 v[112:113], v[112:113], v[102:103]
	v_pk_mul_f32 v[102:103], v[76:77], s[62:63] op_sel_hi:[0,1]
	v_pk_add_f32 v[114:115], v[114:115], v[102:103]
	v_mov_b32_e32 v102, v65
	v_pk_add_f32 v[102:103], v[102:103], v[36:37]
	v_pk_mul_f32 v[116:117], v[58:59], s[14:15] op_sel_hi:[0,1]
	v_pk_add_f32 v[102:103], v[102:103], v[38:39]
	v_mov_b32_e32 v116, v28
	v_pk_add_f32 v[102:103], v[102:103], v[30:31]
	v_mov_b32_e32 v118, v26
	;; [unrolled: 2-line block ×6, first 2 shown]
	v_mov_b32_e32 v103, v7
	v_pk_add_f32 v[116:117], v[102:103], v[116:117]
	v_mov_b32_e32 v112, v16
	v_pk_add_f32 v[116:117], v[116:117], v[64:65]
	v_mul_u32_u24_e32 v7, 0x44, v0
	v_pk_add_f32 v[116:117], v[118:119], v[116:117]
	v_mov_b32_e32 v114, v10
	v_pk_add_f32 v[116:117], v[104:105], v[116:117]
	v_mov_b32_e32 v78, v58
	;; [unrolled: 2-line block ×3, first 2 shown]
	v_pk_add_f32 v[106:107], v[108:109], v[106:107]
	v_add3_u32 v7, 0, v7, v1
	v_pk_add_f32 v[110:111], v[110:111], v[106:107]
	s_mov_b32 s60, s14
	v_pk_add_f32 v[110:111], v[112:113], v[110:111]
	s_mov_b32 s61, s13
	v_pk_add_f32 v[110:111], v[114:115], v[110:111]
	v_mov_b32_e32 v100, v45
	v_mov_b32_e32 v101, v45
	ds_write2_b32 v7, v110, v111 offset1:1
	s_mov_b32 s58, s16
	s_mov_b32 s59, s19
	v_pk_mul_f32 v[110:111], v[78:79], s[60:61]
	v_mov_b32_e32 v82, v60
	v_mov_b32_e32 v83, v60
	v_pk_fma_f32 v[110:111], v[100:101], s[58:59], v[110:111]
	s_mov_b32 s58, s6
	s_mov_b32 s59, s12
	v_mov_b32_e32 v80, v65
	v_mov_b32_e32 v81, v65
	;; [unrolled: 1-line block ×4, first 2 shown]
	s_mov_b32 s21, s18
	v_pk_mul_f32 v[112:113], v[82:83], s[58:59]
	v_mov_b32_e32 v102, v62
	v_mov_b32_e32 v103, v62
	v_pk_add_f32 v[110:111], v[80:81], v[110:111]
	v_pk_fma_f32 v[112:113], v[120:121], s[20:21], v[112:113]
	s_mov_b32 s58, s12
	s_mov_b32 s59, s10
	v_mov_b32_e32 v118, v47
	v_mov_b32_e32 v119, v47
	v_pk_add_f32 v[110:111], v[110:111], v[112:113]
	s_mov_b32 s19, s31
	v_pk_mul_f32 v[112:113], v[102:103], s[58:59]
	v_mov_b32_e32 v104, v66
	v_mov_b32_e32 v105, v66
	;; [unrolled: 1-line block ×4, first 2 shown]
	s_mov_b32 s23, s53
	v_pk_fma_f32 v[112:113], v[118:119], s[18:19], v[112:113]
	s_mov_b32 s58, s10
	s_mov_b32 s59, s25
	v_mov_b32_e32 v116, v51
	v_mov_b32_e32 v117, v51
	v_pk_mul_f32 v[106:107], v[108:109], s[22:23]
	v_pk_add_f32 v[110:111], v[110:111], v[112:113]
	s_mov_b32 s23, s30
	v_pk_mul_f32 v[112:113], v[104:105], s[58:59]
	s_mov_b32 s58, s24
	v_pk_fma_f32 v[112:113], v[116:117], s[22:23], v[112:113]
	s_mov_b32 s59, s14
	v_pk_add_f32 v[110:111], v[110:111], v[112:113]
	v_mov_b32_e32 v112, v68
	v_mov_b32_e32 v113, v68
	;; [unrolled: 1-line block ×4, first 2 shown]
	s_mov_b32 s19, s37
	s_mov_b32 s37, s53
	v_pk_mul_f32 v[122:123], v[112:113], s[58:59]
	s_mov_b32 s11, s14
	v_pk_fma_f32 v[122:123], v[114:115], s[36:37], v[122:123]
	s_mov_b32 s36, s14
	v_pk_add_f32 v[110:111], v[110:111], v[122:123]
	v_mov_b32_e32 v122, v70
	v_mov_b32_e32 v123, v70
	s_mov_b32 s14, s25
	v_mov_b32_e32 v124, v55
	v_mov_b32_e32 v125, v55
	s_mov_b32 s31, s17
	v_pk_mul_f32 v[126:127], v[122:123], s[14:15]
	s_mov_b32 s60, s13
	v_pk_fma_f32 v[126:127], v[124:125], s[30:31], v[126:127]
	s_mov_b32 s61, s6
	v_pk_add_f32 v[110:111], v[110:111], v[126:127]
	v_mov_b32_e32 v126, v72
	v_mov_b32_e32 v127, v72
	s_mov_b32 s58, s28
	s_mov_b32 s59, s20
	v_pk_mul_f32 v[128:129], v[126:127], s[60:61]
	v_mov_b32_e32 v75, v74
	v_pk_fma_f32 v[108:109], v[108:109], s[58:59], v[128:129]
	s_mov_b32 s58, s15
	v_pk_add_f32 v[108:109], v[110:111], v[108:109]
	v_mov_b32_e32 v110, v76
	v_mov_b32_e32 v111, v76
	s_mov_b32 s59, s24
	s_mov_b32 s49, s29
	v_pk_mul_f32 v[128:129], v[110:111], s[58:59]
	v_mul_f32_e32 v10, 0xbe8c1d8e, v58
	v_pk_fma_f32 v[128:129], v[74:75], s[48:49], v[128:129]
	v_mov_b32_e32 v99, v97
	v_pk_add_f32 v[108:109], v[108:109], v[128:129]
	ds_write2_b32 v7, v108, v109 offset0:2 offset1:3
	v_pk_mul_f32 v[108:109], v[58:59], s[50:51] op_sel_hi:[0,1]
	v_mov_b32_e32 v109, v10
	v_pk_add_f32 v[98:99], v[98:99], v[108:109]
	v_mul_f32_e32 v10, 0xbf59a7d5, v60
	v_pk_mul_f32 v[108:109], v[60:61], s[44:45] op_sel_hi:[0,1]
	v_mov_b32_e32 v97, v95
	v_mov_b32_e32 v109, v10
	v_pk_add_f32 v[96:97], v[96:97], v[108:109]
	v_pk_add_f32 v[98:99], v[80:81], v[98:99]
	v_mul_f32_e32 v10, 0x3f3d2fb0, v62
	v_pk_add_f32 v[96:97], v[98:99], v[96:97]
	v_pk_mul_f32 v[98:99], v[62:63], s[38:39] op_sel_hi:[0,1]
	v_mov_b32_e32 v95, v93
	v_mov_b32_e32 v99, v10
	v_pk_add_f32 v[94:95], v[94:95], v[98:99]
	v_mul_f32_e32 v10, 0x3ee437d1, v66
	v_pk_add_f32 v[94:95], v[96:97], v[94:95]
	v_pk_mul_f32 v[96:97], v[66:67], s[40:41] op_sel_hi:[0,1]
	v_mov_b32_e32 v93, v91
	v_mov_b32_e32 v97, v10
	v_pk_add_f32 v[92:93], v[92:93], v[96:97]
	v_mul_f32_e32 v10, 0xbf7ba420, v68
	v_pk_add_f32 v[92:93], v[94:95], v[92:93]
	v_pk_mul_f32 v[94:95], v[68:69], s[42:43] op_sel_hi:[0,1]
	v_mul_f32_e32 v16, 0x3dbcf732, v70
	v_mov_b32_e32 v91, v89
	v_mov_b32_e32 v95, v10
	v_pk_mul_f32 v[96:97], v[70:71], s[46:47] op_sel_hi:[0,1]
	v_mul_f32_e32 v20, 0x3f6eb680, v72
	v_pk_add_f32 v[90:91], v[90:91], v[94:95]
	v_pk_mul_f32 v[94:95], v[72:73], s[54:55] op_sel_hi:[0,1]
	v_mov_b32_e32 v89, v87
	v_mov_b32_e32 v97, v16
	v_pk_add_f32 v[90:91], v[92:93], v[90:91]
	v_pk_mul_f32 v[92:93], v[76:77], s[56:57] op_sel_hi:[0,1]
	v_pk_add_f32 v[88:89], v[88:89], v[96:97]
	v_mov_b32_e32 v87, v5
	v_mov_b32_e32 v95, v20
	v_mul_f32_e32 v93, 0xbf1a4643, v76
	v_pk_add_f32 v[88:89], v[90:91], v[88:89]
	v_pk_add_f32 v[86:87], v[86:87], v[94:95]
	s_mov_b32 s40, s18
	v_pk_add_f32 v[86:87], v[88:89], v[86:87]
	s_mov_b32 s41, s29
	;; [unrolled: 2-line block ×3, first 2 shown]
	s_mov_b32 s39, s24
	v_pk_mul_f32 v[88:89], v[100:101], s[40:41]
	s_mov_b32 s31, s28
	v_pk_add_f32 v[84:85], v[86:87], v[84:85]
	s_mov_b32 s40, s25
	s_mov_b32 s41, s13
	v_pk_mul_f32 v[90:91], v[120:121], s[30:31]
	s_mov_b32 s42, s17
	s_mov_b32 s43, s20
	ds_write2_b32 v7, v84, v85 offset0:4 offset1:5
	v_pk_fma_f32 v[84:85], v[78:79], s[38:39], v[88:89]
	s_mov_b32 s30, s15
	s_mov_b32 s31, s6
	v_pk_mul_f32 v[94:95], v[118:119], s[42:43]
	s_mov_b32 s42, s29
	s_mov_b32 s43, s34
	v_pk_add_f32 v[84:85], v[80:81], v[84:85]
	v_pk_fma_f32 v[86:87], v[82:83], s[40:41], v[90:91]
	s_mov_b32 s20, s24
	s_mov_b32 s21, s12
	v_pk_mul_f32 v[96:97], v[116:117], s[42:43]
	s_mov_b32 s53, s17
	v_pk_add_f32 v[84:85], v[84:85], v[86:87]
	v_pk_fma_f32 v[86:87], v[102:103], s[30:31], v[94:95]
	s_mov_b32 s7, s15
	v_pk_mul_f32 v[98:99], v[114:115], s[52:53]
	s_mov_b32 s17, s22
	v_pk_add_f32 v[84:85], v[84:85], v[86:87]
	v_pk_fma_f32 v[86:87], v[104:105], s[20:21], v[96:97]
	s_mov_b32 s37, s10
	v_pk_mul_f32 v[100:101], v[124:125], s[16:17]
	v_pk_add_f32 v[84:85], v[84:85], v[86:87]
	v_pk_fma_f32 v[86:87], v[112:113], s[6:7], v[98:99]
	s_mov_b32 s18, s28
	v_pk_add_f32 v[84:85], v[84:85], v[86:87]
	v_pk_fma_f32 v[86:87], v[122:123], s[36:37], v[100:101]
	s_mov_b32 s24, s13
	v_pk_mul_f32 v[92:93], v[74:75], s[18:19]
	v_pk_add_f32 v[84:85], v[84:85], v[86:87]
	v_pk_fma_f32 v[86:87], v[126:127], s[10:11], v[106:107]
	v_mul_f32_e32 v10, 0xbf7ba420, v58
	v_pk_add_f32 v[84:85], v[84:85], v[86:87]
	v_pk_fma_f32 v[86:87], v[110:111], s[24:25], v[92:93]
	v_mul_f32_e32 v16, 0xbe3c28d5, v45
	v_pk_add_f32 v[84:85], v[84:85], v[86:87]
	v_mul_f32_e32 v18, 0x3f6eb680, v60
	v_mul_f32_e32 v20, 0x3eb8f4ab, v49
	ds_write2_b32 v7, v84, v85 offset0:6 offset1:7
	v_pk_add_f32 v[84:85], v[10:11], v[16:17]
	v_pk_add_f32 v[86:87], v[10:11], v[16:17] neg_lo:[0,1] neg_hi:[0,1]
	v_pk_add_f32 v[108:109], v[18:19], v[20:21] neg_lo:[0,1] neg_hi:[0,1]
	v_mov_b32_e32 v85, v86
	v_pk_add_f32 v[86:87], v[18:19], v[20:21]
	v_mul_f32_e32 v22, 0xbf59a7d5, v62
	v_mul_f32_e32 v24, 0xbf06c442, v47
	v_mov_b32_e32 v87, v108
	v_pk_add_f32 v[84:85], v[80:81], v[84:85]
	v_pk_add_f32 v[108:109], v[22:23], v[24:25] neg_lo:[0,1] neg_hi:[0,1]
	v_pk_add_f32 v[84:85], v[84:85], v[86:87]
	v_pk_add_f32 v[86:87], v[22:23], v[24:25]
	v_mul_f32_e32 v26, 0x3f3d2fb0, v66
	v_mul_f32_e32 v10, 0x3f2c7751, v51
	v_mov_b32_e32 v87, v108
	v_pk_add_f32 v[84:85], v[84:85], v[86:87]
	v_pk_add_f32 v[86:87], v[26:27], v[10:11]
	v_pk_add_f32 v[108:109], v[26:27], v[10:11] neg_lo:[0,1] neg_hi:[0,1]
	v_mul_f32_e32 v16, 0xbf1a4643, v68
	v_mul_f32_e32 v18, 0xbf4c4adb, v53
	v_mov_b32_e32 v87, v108
	v_mul_f32_e32 v26, 0x3dbcf732, v76
	v_pk_add_f32 v[76:77], v[84:85], v[86:87]
	v_pk_add_f32 v[84:85], v[16:17], v[18:19]
	v_pk_add_f32 v[86:87], v[16:17], v[18:19] neg_lo:[0,1] neg_hi:[0,1]
	v_mul_f32_e32 v20, 0x3ee437d1, v70
	v_mul_f32_e32 v22, 0x3f65296c, v55
	v_mov_b32_e32 v85, v86
	v_pk_add_f32 v[76:77], v[76:77], v[84:85]
	v_pk_add_f32 v[84:85], v[20:21], v[22:23]
	v_pk_add_f32 v[86:87], v[20:21], v[22:23] neg_lo:[0,1] neg_hi:[0,1]
	v_mul_f32_e32 v10, 0xbe8c1d8e, v72
	v_mul_f32_e32 v24, 0xbf763a35, v57
	v_mov_b32_e32 v85, v86
	v_pk_add_f32 v[76:77], v[76:77], v[84:85]
	v_pk_add_f32 v[84:85], v[10:11], v[24:25]
	v_pk_add_f32 v[86:87], v[10:11], v[24:25] neg_lo:[0,1] neg_hi:[0,1]
	v_mul_f32_e32 v74, 0x3f7ee86f, v74
	v_mov_b32_e32 v85, v86
	v_pk_add_f32 v[76:77], v[76:77], v[84:85]
	v_pk_add_f32 v[84:85], v[26:27], v[74:75]
	v_pk_add_f32 v[74:75], v[26:27], v[74:75] neg_lo:[0,1] neg_hi:[0,1]
	s_nop 0
	v_mov_b32_e32 v85, v74
	v_pk_add_f32 v[74:75], v[76:77], v[84:85]
	ds_write2_b32 v7, v74, v75 offset0:8 offset1:9
	v_pk_fma_f32 v[74:75], v[78:79], s[38:39], v[88:89] neg_lo:[0,0,1] neg_hi:[0,0,1]
	v_pk_fma_f32 v[76:77], v[82:83], s[40:41], v[90:91] neg_lo:[0,0,1] neg_hi:[0,0,1]
	v_pk_add_f32 v[74:75], v[80:81], v[74:75]
	s_nop 0
	v_pk_add_f32 v[74:75], v[74:75], v[76:77]
	v_pk_fma_f32 v[76:77], v[102:103], s[30:31], v[94:95] neg_lo:[0,0,1] neg_hi:[0,0,1]
	s_nop 0
	v_pk_add_f32 v[74:75], v[74:75], v[76:77]
	v_pk_fma_f32 v[76:77], v[104:105], s[20:21], v[96:97] neg_lo:[0,0,1] neg_hi:[0,0,1]
	;; [unrolled: 3-line block ×6, first 2 shown]
	s_nop 0
	v_pk_add_f32 v[74:75], v[74:75], v[76:77]
	ds_write2_b32 v7, v75, v74 offset0:10 offset1:11
	ds_write_b32 v7, v6 offset:48
	ds_write2_b32 v7, v14, v15 offset0:13 offset1:14
	ds_write2_b32 v7, v8, v9 offset0:15 offset1:16
	v_mov_b32_e32 v10, v75
	v_mov_b32_e32 v5, v74
.LBB0_15:
	s_or_b64 exec, exec, s[26:27]
	v_lshlrev_b32_e32 v5, 2, v0
	v_add_u32_e32 v16, 0, v5
	v_add3_u32 v26, 0, v1, v5
	v_add_u32_e32 v5, v16, v1
	v_add_u32_e32 v7, 0x400, v5
	s_waitcnt lgkmcnt(0)
	s_barrier
	ds_read2_b32 v[76:77], v7 offset0:67 offset1:186
	v_add_u32_e32 v7, 0x800, v5
	ds_read2_b32 v[78:79], v7 offset0:32 offset1:151
	v_add_u32_e32 v7, 0xa00, v5
	v_add_u32_e32 v10, 0xe00, v5
	ds_read2_b32 v[74:75], v5 offset0:102 offset1:221
	ds_read2_b32 v[80:81], v7 offset0:125 offset1:244
	;; [unrolled: 1-line block ×3, first 2 shown]
	ds_read_b32 v126, v26
	ds_read_b32 v127, v5 offset:4828
	v_mov_b32_e32 v86, v29
	v_mov_b32_e32 v87, v29
	v_cmp_gt_u32_e32 vcc, 17, v0
                                        ; implicit-def: $vgpr85
	s_and_saveexec_b64 s[6:7], vcc
	s_cbranch_execz .LBB0_17
; %bb.16:
	v_add_u32_e32 v6, 0x300, v5
	ds_read2_b32 v[88:89], v7 offset0:6 offset1:227
	v_add_u32_e32 v7, 0x1100, v5
	ds_read2_b32 v[84:85], v7 offset1:221
	ds_read2_b32 v[6:7], v6 offset0:12 offset1:233
	s_waitcnt lgkmcnt(2)
	v_mov_b32_e32 v8, v89
	s_waitcnt lgkmcnt(1)
	v_mov_b32_e32 v9, v84
	;; [unrolled: 2-line block ×3, first 2 shown]
	v_mov_b32_e32 v15, v88
.LBB0_17:
	s_or_b64 exec, exec, s[6:7]
	v_mul_f32_e32 v128, 0xbf763a35, v44
	v_fmamk_f32 v7, v59, 0xbe8c1d8e, v128
	v_mul_f32_e32 v84, 0x3f06c442, v48
	v_add_f32_e32 v7, v13, v7
	v_fmamk_f32 v10, v61, 0xbf59a7d5, v84
	v_mul_f32_e32 v22, 0x3f2c7751, v46
	v_add_f32_e32 v7, v7, v10
	;; [unrolled: 3-line block ×5, first 2 shown]
	v_fmamk_f32 v10, v71, 0x3dbcf732, v18
	s_mov_b32 s25, 0xbeb8f4ab
	s_mov_b32 s24, 0xbf2c7751
	;; [unrolled: 1-line block ×3, first 2 shown]
	v_add_f32_e32 v10, v7, v10
	s_mov_b32 s11, 0x3f6eb680
	v_mul_f32_e32 v7, 0xbeb8f4ab, v56
	v_pk_mul_f32 v[112:113], v[44:45], s[24:25] op_sel_hi:[0,1]
	s_mov_b32 s34, 0xbf7ee86f
	s_mov_b32 s35, s24
	;; [unrolled: 1-line block ×5, first 2 shown]
	v_fmamk_f32 v88, v73, 0x3f6eb680, v7
	v_pk_add_f32 v[90:91], v[28:29], v[64:65] neg_lo:[0,1] neg_hi:[0,1]
	v_pk_fma_f32 v[64:65], v[58:59], s[10:11], v[112:113] op_sel:[1,0,0]
	s_mov_b32 s17, s10
	v_pk_mul_f32 v[114:115], v[48:49], s[34:35] op_sel_hi:[0,1]
	s_mov_b32 s28, 0xbf4c4adb
	s_mov_b32 s12, 0x3f06c442
	;; [unrolled: 1-line block ×3, first 2 shown]
	v_add_f32_e32 v10, v10, v88
	v_pk_add_f32 v[88:89], v[86:87], v[12:13]
	v_pk_add_f32 v[64:65], v[12:13], v[64:65] op_sel:[1,0]
	v_pk_fma_f32 v[86:87], v[60:61], s[16:17], v[114:115] op_sel:[1,0,0]
	v_pk_mul_f32 v[116:117], v[46:47], s[28:29] op_sel_hi:[0,1]
	s_mov_b32 s23, s34
	s_mov_b32 s13, 0xbf763a35
	;; [unrolled: 1-line block ×3, first 2 shown]
	v_pk_add_f32 v[64:65], v[64:65], v[86:87]
	v_pk_fma_f32 v[86:87], v[62:63], s[18:19], v[116:117] op_sel:[1,0,0]
	s_mov_b32 s15, s16
	v_pk_mul_f32 v[118:119], v[50:51], s[22:23] op_sel_hi:[0,1]
	s_mov_b32 s7, 0xbe8c1d8e
	s_mov_b32 s6, 0xbf59a7d5
	v_pk_add_f32 v[64:65], v[64:65], v[86:87]
	v_pk_fma_f32 v[86:87], v[66:67], s[14:15], v[118:119] op_sel:[1,0,0]
	v_pk_mul_f32 v[120:121], v[52:53], s[12:13] op_sel_hi:[0,1]
	s_mov_b32 s38, 0x3f763a35
	s_mov_b32 s39, s28
	v_pk_add_f32 v[64:65], v[64:65], v[86:87]
	v_pk_fma_f32 v[86:87], v[68:69], s[6:7], v[120:121] op_sel:[1,0,0]
	s_mov_b32 s44, s7
	s_mov_b32 s45, s18
	v_pk_mul_f32 v[122:123], v[54:55], s[38:39] op_sel_hi:[0,1]
	s_mov_b32 s37, 0xbf06c442
	s_mov_b32 s36, 0x3f65296c
	v_pk_add_f32 v[64:65], v[64:65], v[86:87]
	v_pk_fma_f32 v[86:87], v[70:71], s[44:45], v[122:123] op_sel:[1,0,0]
	s_mov_b32 s46, s19
	s_mov_b32 s47, s6
	;; [unrolled: 7-line block ×3, first 2 shown]
	v_pk_mul_f32 v[110:111], v[90:91], s[42:43] op_sel_hi:[0,1]
	s_mov_b32 s35, s29
	v_pk_add_f32 v[64:65], v[64:65], v[86:87]
	v_pk_fma_f32 v[86:87], v[88:89], s[48:49], v[110:111] op_sel_hi:[0,1,1]
	s_mov_b32 s50, s16
	s_mov_b32 s51, s19
	v_pk_mul_f32 v[94:95], v[44:45], s[34:35] op_sel_hi:[0,1]
	s_mov_b32 s23, s28
	v_pk_add_f32 v[64:65], v[64:65], v[86:87]
	v_pk_fma_f32 v[86:87], v[58:59], s[50:51], v[94:95] op_sel:[1,0,0]
	s_mov_b32 s52, s14
	s_mov_b32 s53, s18
	v_pk_mul_f32 v[96:97], v[48:49], s[22:23] op_sel_hi:[0,1]
	s_mov_b32 s39, 0x3e3c28d5
	v_pk_add_f32 v[86:87], v[12:13], v[86:87] op_sel:[1,0]
	v_pk_fma_f32 v[92:93], v[60:61], s[52:53], v[96:97] op_sel:[1,0,0]
	s_mov_b32 s54, s7
	s_mov_b32 s55, s14
	v_pk_mul_f32 v[98:99], v[46:47], s[38:39] op_sel_hi:[0,1]
	s_mov_b32 s43, s38
	s_mov_b32 s21, 0x3f2c7751
	v_pk_add_f32 v[86:87], v[86:87], v[92:93]
	v_pk_fma_f32 v[92:93], v[62:63], s[54:55], v[98:99] op_sel:[1,0,0]
	s_mov_b32 s56, s11
	s_mov_b32 s57, s7
	v_pk_mul_f32 v[100:101], v[50:51], s[42:43] op_sel_hi:[0,1]
	s_mov_b32 s20, s29
	v_pk_add_f32 v[86:87], v[86:87], v[92:93]
	v_pk_fma_f32 v[92:93], v[66:67], s[56:57], v[100:101] op_sel:[1,0,0]
	s_mov_b32 s58, s19
	s_mov_b32 s59, s10
	v_pk_mul_f32 v[102:103], v[52:53], s[20:21] op_sel_hi:[0,1]
	s_mov_b32 s30, s37
	s_mov_b32 s31, s25
	v_pk_add_f32 v[86:87], v[86:87], v[92:93]
	v_pk_fma_f32 v[92:93], v[68:69], s[58:59], v[102:103] op_sel:[1,0,0]
	s_mov_b32 s60, s6
	s_mov_b32 s61, s11
	v_pk_mul_f32 v[104:105], v[54:55], s[30:31] op_sel_hi:[0,1]
	s_mov_b32 s40, 0x3f4c4adb
	;; [unrolled: 7-line block ×3, first 2 shown]
	s_mov_b32 s31, s37
	v_pk_add_f32 v[86:87], v[86:87], v[92:93]
	v_pk_fma_f32 v[92:93], v[72:73], s[62:63], v[106:107] op_sel:[1,0,0]
	s_mov_b32 s64, s10
	s_mov_b32 s65, s6
	v_pk_mul_f32 v[108:109], v[90:91], s[30:31] op_sel_hi:[0,1]
	v_pk_add_f32 v[86:87], v[86:87], v[92:93]
	v_pk_fma_f32 v[92:93], v[88:89], s[64:65], v[108:109] op_sel_hi:[0,1,1]
	v_mul_f32_e32 v109, 0xbf4c4adb, v90
	v_fmamk_f32 v45, v88, 0xbf1a4643, v109
	s_mov_b32 s26, 0x3f7ee86f
	v_pk_add_f32 v[86:87], v[86:87], v[92:93]
	v_add_f32_e32 v10, v10, v45
	s_waitcnt lgkmcnt(0)
	s_barrier
	s_and_saveexec_b64 s[30:31], s[2:3]
	s_cbranch_execz .LBB0_19
; %bb.18:
	v_pk_add_f32 v[36:37], v[12:13], v[36:37]
	v_pk_mul_f32 v[130:131], v[58:59], s[10:11] op_sel:[1,0]
	v_pk_add_f32 v[38:39], v[36:37], v[38:39]
	v_pk_add_f32 v[112:113], v[130:131], v[112:113] neg_lo:[0,1] neg_hi:[0,1]
	v_pk_add_f32 v[38:39], v[38:39], v[30:31]
	v_mov_b32_e32 v36, v13
	v_pk_add_f32 v[38:39], v[38:39], v[42:43]
	v_pk_mul_f32 v[42:43], v[60:61], s[16:17] op_sel:[1,0]
	v_pk_add_f32 v[40:41], v[38:39], v[40:41]
	v_pk_add_f32 v[42:43], v[42:43], v[114:115] neg_lo:[0,1] neg_hi:[0,1]
	v_pk_add_f32 v[32:33], v[40:41], v[32:33]
	v_pk_mul_f32 v[40:41], v[62:63], s[18:19] op_sel:[1,0]
	v_pk_add_f32 v[32:33], v[32:33], v[34:35]
	v_mov_b32_e32 v37, v13
	v_pk_add_f32 v[28:29], v[32:33], v[28:29]
	v_pk_mul_f32 v[32:33], v[66:67], s[14:15] op_sel:[1,0]
	v_mov_b32_e32 v112, v29
	v_pk_add_f32 v[40:41], v[40:41], v[116:117] neg_lo:[0,1] neg_hi:[0,1]
	v_pk_add_f32 v[12:13], v[112:113], v[12:13]
	v_mov_b32_e32 v42, v27
	v_pk_mul_f32 v[114:115], v[68:69], s[6:7] op_sel:[1,0]
	v_pk_add_f32 v[32:33], v[32:33], v[118:119] neg_lo:[0,1] neg_hi:[0,1]
	v_pk_add_f32 v[12:13], v[42:43], v[12:13]
	v_mov_b32_e32 v40, v23
	v_pk_mul_f32 v[118:119], v[70:71], s[44:45] op_sel:[1,0]
	v_pk_add_f32 v[114:115], v[114:115], v[120:121] neg_lo:[0,1] neg_hi:[0,1]
	v_pk_add_f32 v[12:13], v[40:41], v[12:13]
	v_mov_b32_e32 v32, v25
	v_pk_add_f32 v[118:119], v[118:119], v[122:123] neg_lo:[0,1] neg_hi:[0,1]
	v_pk_mul_f32 v[122:123], v[72:73], s[46:47] op_sel:[1,0]
	v_pk_add_f32 v[12:13], v[32:33], v[12:13]
	v_mov_b32_e32 v114, v21
	v_pk_add_f32 v[122:123], v[122:123], v[124:125] neg_lo:[0,1] neg_hi:[0,1]
	v_pk_mul_f32 v[28:29], v[88:89], s[48:49] op_sel_hi:[0,1]
	v_pk_add_f32 v[12:13], v[114:115], v[12:13]
	v_mov_b32_e32 v118, v19
	v_pk_add_f32 v[12:13], v[118:119], v[12:13]
	v_mov_b32_e32 v122, v17
	v_pk_add_f32 v[28:29], v[28:29], v[110:111] neg_lo:[0,1] neg_hi:[0,1]
	v_mov_b32_e32 v45, v44
	v_pk_add_f32 v[12:13], v[122:123], v[12:13]
	v_mov_b32_e32 v28, v11
	s_mov_b32 s44, s21
	s_mov_b32 s45, s36
	v_mov_b32_e32 v92, v59
	v_mov_b32_e32 v93, v59
	;; [unrolled: 1-line block ×3, first 2 shown]
	v_pk_add_f32 v[12:13], v[28:29], v[12:13]
	s_mov_b32 s2, s10
	s_mov_b32 s3, s19
	v_pk_mul_f32 v[28:29], v[44:45], s[44:45]
	s_mov_b32 s27, s40
	v_mov_b32_e32 v30, v61
	v_mov_b32_e32 v31, v61
	v_pk_fma_f32 v[28:29], v[92:93], s[2:3], v[28:29]
	s_mov_b32 s17, s18
	v_pk_mul_f32 v[144:145], v[48:49], s[26:27]
	v_mov_b32_e32 v47, v46
	v_pk_add_f32 v[28:29], v[36:37], v[28:29]
	v_pk_fma_f32 v[144:145], v[30:31], s[16:17], v[144:145]
	s_mov_b32 s41, s22
	v_mov_b32_e32 v38, v63
	v_mov_b32_e32 v39, v63
	v_pk_add_f32 v[28:29], v[28:29], v[144:145]
	s_mov_b32 s2, s18
	s_mov_b32 s3, s14
	v_pk_mul_f32 v[144:145], v[46:47], s[40:41]
	v_mul_f32_e32 v95, 0xbe8c1d8e, v59
	v_mov_b32_e32 v51, v50
	v_pk_mul_f32 v[112:113], v[58:59], s[50:51] op_sel:[1,0]
	v_pk_fma_f32 v[144:145], v[38:39], s[2:3], v[144:145]
	s_mov_b32 s2, s39
	s_mov_b32 s3, s13
	v_mul_f32_e32 v97, 0xbf59a7d5, v61
	v_mov_b32_e32 v34, v67
	v_mov_b32_e32 v35, v67
	v_pk_mul_f32 v[132:133], v[60:61], s[52:53] op_sel:[1,0]
	v_pk_add_f32 v[28:29], v[28:29], v[144:145]
	s_mov_b32 s15, s7
	v_pk_mul_f32 v[144:145], v[50:51], s[2:3]
	v_mov_b32_e32 v113, v95
	v_mov_b32_e32 v95, v128
	v_mul_f32_e32 v99, 0x3f3d2fb0, v63
	v_mov_b32_e32 v53, v52
	v_pk_mul_f32 v[42:43], v[62:63], s[54:55] op_sel:[1,0]
	v_pk_fma_f32 v[144:145], v[34:35], s[14:15], v[144:145]
	s_mov_b32 s44, s37
	s_mov_b32 s45, s24
	v_pk_add_f32 v[94:95], v[112:113], v[94:95] neg_lo:[0,1] neg_hi:[0,1]
	v_mov_b32_e32 v133, v97
	v_mov_b32_e32 v97, v84
	v_mul_f32_e32 v101, 0x3ee437d1, v67
	v_mov_b32_e32 v130, v69
	v_mov_b32_e32 v131, v69
	v_pk_mul_f32 v[134:135], v[66:67], s[56:57] op_sel:[1,0]
	v_pk_add_f32 v[28:29], v[28:29], v[144:145]
	s_mov_b32 s2, s6
	s_mov_b32 s3, s10
	v_pk_mul_f32 v[144:145], v[52:53], s[44:45]
	v_pk_add_f32 v[94:95], v[36:37], v[94:95]
	v_pk_add_f32 v[96:97], v[132:133], v[96:97] neg_lo:[0,1] neg_hi:[0,1]
	v_mov_b32_e32 v43, v99
	v_mov_b32_e32 v99, v22
	v_mul_f32_e32 v103, 0xbf7ba420, v69
	v_mov_b32_e32 v55, v54
	v_pk_mul_f32 v[40:41], v[68:69], s[58:59] op_sel:[1,0]
	v_pk_fma_f32 v[144:145], v[130:131], s[2:3], v[144:145]
	s_mov_b32 s44, s13
	s_mov_b32 s45, s42
	v_pk_add_f32 v[94:95], v[94:95], v[96:97]
	v_pk_add_f32 v[22:23], v[42:43], v[98:99] neg_lo:[0,1] neg_hi:[0,1]
	v_mov_b32_e32 v135, v101
	v_mov_b32_e32 v101, v24
	v_mul_f32_e32 v105, 0x3dbcf732, v71
	v_mov_b32_e32 v116, v71
	v_mov_b32_e32 v117, v71
	v_pk_mul_f32 v[136:137], v[70:71], s[60:61] op_sel:[1,0]
	v_pk_add_f32 v[28:29], v[28:29], v[144:145]
	s_mov_b32 s2, s7
	s_mov_b32 s3, s11
	v_pk_mul_f32 v[144:145], v[54:55], s[44:45]
	v_pk_add_f32 v[22:23], v[94:95], v[22:23]
	v_pk_add_f32 v[24:25], v[134:135], v[100:101] neg_lo:[0,1] neg_hi:[0,1]
	v_mov_b32_e32 v41, v103
	v_mov_b32_e32 v103, v20
	v_mul_f32_e32 v107, 0x3f6eb680, v73
	v_mov_b32_e32 v57, v56
	v_pk_mul_f32 v[32:33], v[72:73], s[62:63] op_sel:[1,0]
	v_pk_fma_f32 v[144:145], v[116:117], s[2:3], v[144:145]
	s_mov_b32 s42, s29
	s_mov_b32 s43, s26
	v_pk_add_f32 v[22:23], v[22:23], v[24:25]
	v_pk_add_f32 v[20:21], v[40:41], v[102:103] neg_lo:[0,1] neg_hi:[0,1]
	v_mov_b32_e32 v137, v105
	v_mov_b32_e32 v105, v18
	v_mov_b32_e32 v120, v73
	v_mov_b32_e32 v121, v73
	v_pk_mul_f32 v[138:139], v[88:89], s[64:65] op_sel_hi:[0,1]
	v_pk_add_f32 v[28:29], v[28:29], v[144:145]
	s_mov_b32 s2, s19
	s_mov_b32 s3, s16
	v_pk_mul_f32 v[144:145], v[56:57], s[42:43]
	v_pk_add_f32 v[20:21], v[22:23], v[20:21]
	v_pk_add_f32 v[18:19], v[136:137], v[104:105] neg_lo:[0,1] neg_hi:[0,1]
	v_mov_b32_e32 v33, v107
	v_mov_b32_e32 v107, v7
	;; [unrolled: 1-line block ×3, first 2 shown]
	v_mul_f32_e32 v139, 0xbf1a4643, v88
	v_pk_fma_f32 v[144:145], v[120:121], s[2:3], v[144:145]
	s_mov_b32 s42, s25
	s_mov_b32 s43, s12
	v_pk_add_f32 v[18:19], v[20:21], v[18:19]
	v_pk_add_f32 v[20:21], v[32:33], v[106:107] neg_lo:[0,1] neg_hi:[0,1]
	v_mov_b32_e32 v124, v88
	v_mov_b32_e32 v125, v88
	v_pk_add_f32 v[28:29], v[28:29], v[144:145]
	s_mov_b32 s2, s11
	s_mov_b32 s3, s6
	v_pk_mul_f32 v[144:145], v[90:91], s[42:43]
	v_pk_add_f32 v[18:19], v[18:19], v[20:21]
	v_pk_add_f32 v[20:21], v[138:139], v[108:109] neg_lo:[0,1] neg_hi:[0,1]
	s_mov_b32 s29, s37
	v_pk_fma_f32 v[144:145], v[124:125], s[2:3], v[144:145]
	v_pk_add_f32 v[18:19], v[18:19], v[20:21]
	s_mov_b32 s2, s18
	v_pk_mul_f32 v[20:21], v[44:45], s[28:29]
	s_mov_b32 s39, s36
	v_pk_fma_f32 v[22:23], v[92:93], s[2:3], v[20:21] neg_lo:[0,0,1] neg_hi:[0,0,1]
	s_mov_b32 s28, s7
	s_mov_b32 s29, s19
	v_pk_mul_f32 v[24:25], v[48:49], s[38:39]
	v_pk_add_f32 v[22:23], v[36:37], v[22:23]
	v_pk_fma_f32 v[32:33], v[30:31], s[28:29], v[24:25] neg_lo:[0,0,1] neg_hi:[0,0,1]
	s_mov_b32 s43, s34
	v_pk_add_f32 v[22:23], v[22:23], v[32:33]
	s_mov_b32 s38, s11
	s_mov_b32 s39, s16
	v_pk_mul_f32 v[32:33], v[46:47], s[42:43]
	v_pk_fma_f32 v[20:21], v[92:93], s[2:3], v[20:21]
	v_pk_fma_f32 v[40:41], v[38:39], s[38:39], v[32:33] neg_lo:[0,0,1] neg_hi:[0,0,1]
	s_mov_b32 s42, s37
	s_mov_b32 s43, s40
	v_pk_add_f32 v[20:21], v[36:37], v[20:21]
	v_pk_fma_f32 v[24:25], v[30:31], s[28:29], v[24:25]
	v_mul_f32_e32 v58, 0xbf7ba420, v59
	v_mul_f32_e32 v60, 0xbe3c28d5, v44
	v_pk_add_f32 v[22:23], v[22:23], v[40:41]
	s_mov_b32 s34, s6
	s_mov_b32 s35, s18
	v_pk_mul_f32 v[40:41], v[50:51], s[42:43]
	v_pk_add_f32 v[20:21], v[20:21], v[24:25]
	v_pk_fma_f32 v[24:25], v[38:39], s[38:39], v[32:33]
	v_pk_fma_f32 v[42:43], v[34:35], s[34:35], v[40:41] neg_lo:[0,0,1] neg_hi:[0,0,1]
	v_pk_add_f32 v[20:21], v[20:21], v[24:25]
	v_pk_fma_f32 v[24:25], v[34:35], s[34:35], v[40:41]
	v_pk_add_f32 v[32:33], v[58:59], v[60:61] neg_lo:[0,1] neg_hi:[0,1]
	v_pk_add_f32 v[34:35], v[58:59], v[60:61]
	v_mul_f32_e32 v62, 0x3f6eb680, v61
	v_mul_f32_e32 v66, 0x3eb8f4ab, v48
	v_mov_b32_e32 v33, v34
	v_pk_add_f32 v[32:33], v[36:37], v[32:33]
	v_pk_add_f32 v[34:35], v[62:63], v[66:67] neg_lo:[0,1] neg_hi:[0,1]
	v_pk_add_f32 v[36:37], v[62:63], v[66:67]
	v_mul_f32_e32 v68, 0xbf59a7d5, v63
	v_mul_f32_e32 v70, 0xbf06c442, v46
	v_mov_b32_e32 v35, v36
	s_mov_b32 s27, s25
	v_pk_add_f32 v[32:33], v[32:33], v[34:35]
	v_pk_add_f32 v[34:35], v[68:69], v[70:71] neg_lo:[0,1] neg_hi:[0,1]
	v_pk_add_f32 v[36:37], v[68:69], v[70:71]
	v_mul_f32_e32 v72, 0x3f3d2fb0, v67
	v_mul_f32_e32 v114, 0x3f2c7751, v50
	v_pk_add_f32 v[22:23], v[22:23], v[42:43]
	s_mov_b32 s17, s11
	v_pk_mul_f32 v[42:43], v[52:53], s[26:27]
	v_mov_b32_e32 v35, v36
	v_pk_fma_f32 v[44:45], v[130:131], s[16:17], v[42:43] neg_lo:[0,0,1] neg_hi:[0,0,1]
	s_mov_b32 s25, s22
	v_pk_add_f32 v[32:33], v[32:33], v[34:35]
	v_pk_add_f32 v[34:35], v[72:73], v[114:115] neg_lo:[0,1] neg_hi:[0,1]
	v_pk_add_f32 v[36:37], v[72:73], v[114:115]
	v_mul_f32_e32 v118, 0xbf1a4643, v69
	v_mul_f32_e32 v122, 0xbf4c4adb, v52
	v_pk_add_f32 v[22:23], v[22:23], v[44:45]
	s_mov_b32 s11, s14
	v_pk_mul_f32 v[44:45], v[54:55], s[24:25]
	v_mov_b32_e32 v35, v36
	v_pk_fma_f32 v[46:47], v[116:117], s[10:11], v[44:45] neg_lo:[0,0,1] neg_hi:[0,0,1]
	s_mov_b32 s23, s21
	v_pk_add_f32 v[32:33], v[32:33], v[34:35]
	v_pk_add_f32 v[34:35], v[118:119], v[122:123] neg_lo:[0,1] neg_hi:[0,1]
	v_pk_add_f32 v[36:37], v[118:119], v[122:123]
	v_mul_f32_e32 v140, 0x3ee437d1, v71
	v_mul_f32_e32 v110, 0x3f65296c, v54
	v_pk_add_f32 v[22:23], v[22:23], v[46:47]
	s_mov_b32 s15, s10
	v_pk_mul_f32 v[46:47], v[56:57], s[22:23]
	v_pk_add_f32 v[20:21], v[20:21], v[24:25]
	v_pk_fma_f32 v[24:25], v[130:131], s[16:17], v[42:43]
	v_mov_b32_e32 v35, v36
	v_pk_fma_f32 v[48:49], v[120:121], s[14:15], v[46:47] neg_lo:[0,0,1] neg_hi:[0,0,1]
	s_mov_b32 s37, s13
	v_pk_add_f32 v[20:21], v[20:21], v[24:25]
	v_pk_fma_f32 v[24:25], v[116:117], s[10:11], v[44:45]
	v_pk_add_f32 v[32:33], v[32:33], v[34:35]
	v_pk_add_f32 v[34:35], v[140:141], v[110:111] neg_lo:[0,1] neg_hi:[0,1]
	v_pk_add_f32 v[36:37], v[140:141], v[110:111]
	v_mul_f32_e32 v142, 0xbe8c1d8e, v73
	v_pk_add_f32 v[28:29], v[28:29], v[144:145]
	v_mul_f32_e32 v144, 0xbf763a35, v56
	v_pk_add_f32 v[22:23], v[22:23], v[48:49]
	s_mov_b32 s6, s19
	v_pk_mul_f32 v[48:49], v[90:91], s[36:37]
	v_pk_add_f32 v[20:21], v[20:21], v[24:25]
	v_pk_fma_f32 v[24:25], v[120:121], s[14:15], v[46:47]
	v_mov_b32_e32 v35, v36
	v_pk_add_f32 v[20:21], v[20:21], v[24:25]
	v_pk_fma_f32 v[24:25], v[124:125], s[6:7], v[48:49]
	v_pk_add_f32 v[32:33], v[32:33], v[34:35]
	v_pk_add_f32 v[34:35], v[142:143], v[144:145] neg_lo:[0,1] neg_hi:[0,1]
	v_pk_add_f32 v[36:37], v[142:143], v[144:145]
	v_pk_add_f32 v[20:21], v[20:21], v[24:25]
	v_mul_f32_e32 v24, 0x3dbcf732, v88
	v_mul_f32_e32 v30, 0x3f7ee86f, v90
	v_mov_b32_e32 v35, v36
	v_pk_add_f32 v[32:33], v[32:33], v[34:35]
	v_pk_add_f32 v[34:35], v[24:25], v[30:31] neg_lo:[0,1] neg_hi:[0,1]
	v_pk_add_f32 v[24:25], v[24:25], v[30:31]
	v_lshlrev_b32_e32 v7, 6, v0
	v_pk_fma_f32 v[50:51], v[124:125], s[6:7], v[48:49] neg_lo:[0,0,1] neg_hi:[0,0,1]
	v_mov_b32_e32 v35, v24
	v_add3_u32 v11, v16, v7, v1
	v_pk_add_f32 v[22:23], v[22:23], v[50:51]
	v_pk_add_f32 v[24:25], v[32:33], v[34:35]
	ds_write2_b32 v11, v12, v13 offset1:1
	ds_write2_b32 v11, v28, v29 offset0:2 offset1:3
	ds_write2_b32 v11, v18, v19 offset0:4 offset1:5
	;; [unrolled: 1-line block ×4, first 2 shown]
	v_mov_b32_e32 v7, v20
	ds_write2_b32 v11, v21, v20 offset0:10 offset1:11
	ds_write_b32 v11, v10 offset:48
	ds_write2_b32 v11, v86, v87 offset0:13 offset1:14
	ds_write2_b32 v11, v64, v65 offset0:15 offset1:16
.LBB0_19:
	s_or_b64 exec, exec, s[30:31]
	v_add_u32_e32 v7, 0x400, v5
	s_waitcnt lgkmcnt(0)
	s_barrier
	ds_read2_b32 v[16:17], v7 offset0:67 offset1:186
	v_add_u32_e32 v7, 0x800, v5
	ds_read2_b32 v[18:19], v7 offset0:32 offset1:151
	v_add_u32_e32 v11, 0xa00, v5
	v_add_u32_e32 v7, 0xe00, v5
	ds_read2_b32 v[12:13], v5 offset0:102 offset1:221
	ds_read2_b32 v[20:21], v11 offset0:125 offset1:244
	;; [unrolled: 1-line block ×3, first 2 shown]
	ds_read_b32 v7, v26
	ds_read_b32 v28, v5 offset:4828
                                        ; implicit-def: $vgpr25
	s_and_saveexec_b64 s[2:3], vcc
	s_cbranch_execz .LBB0_21
; %bb.20:
	v_add_u32_e32 v10, 0x300, v5
	ds_read2_b32 v[30:31], v11 offset0:6 offset1:227
	v_add_u32_e32 v11, 0x1100, v5
	ds_read2_b32 v[24:25], v11 offset1:221
	ds_read2_b32 v[10:11], v10 offset0:12 offset1:233
	s_waitcnt lgkmcnt(2)
	v_mov_b32_e32 v64, v31
	s_waitcnt lgkmcnt(1)
	v_mov_b32_e32 v65, v24
	;; [unrolled: 2-line block ×3, first 2 shown]
	v_mov_b32_e32 v87, v30
.LBB0_21:
	s_or_b64 exec, exec, s[2:3]
	s_movk_i32 s2, 0xf1
	v_add_u16_e32 v29, 0x66, v0
	v_mul_lo_u16_sdwa v11, v0, s2 dst_sel:DWORD dst_unused:UNUSED_PAD src0_sel:BYTE_0 src1_sel:DWORD
	v_mul_lo_u16_sdwa v30, v29, s2 dst_sel:DWORD dst_unused:UNUSED_PAD src0_sel:BYTE_0 src1_sel:DWORD
	v_lshrrev_b16_e32 v84, 12, v11
	v_lshrrev_b16_e32 v89, 12, v30
	v_mul_lo_u16_e32 v11, 17, v84
	v_mul_lo_u16_e32 v30, 17, v89
	v_sub_u16_e32 v88, v0, v11
	v_mov_b32_e32 v11, 5
	v_sub_u16_e32 v90, v29, v30
	v_mul_u32_u24_sdwa v24, v88, v11 dst_sel:DWORD dst_unused:UNUSED_PAD src0_sel:BYTE_0 src1_sel:DWORD
	v_mul_u32_u24_sdwa v11, v90, v11 dst_sel:DWORD dst_unused:UNUSED_PAD src0_sel:BYTE_0 src1_sel:DWORD
	v_lshlrev_b32_e32 v24, 3, v24
	v_add_u32_e32 v27, 0xcc, v0
	v_lshlrev_b32_e32 v11, 3, v11
	s_mov_b32 s2, 0xf0f1
	global_load_dwordx4 v[46:49], v24, s[4:5] offset:16
	global_load_dwordx4 v[50:53], v24, s[4:5]
	global_load_dwordx2 v[38:39], v24, s[4:5] offset:32
	global_load_dwordx4 v[54:57], v11, s[4:5]
	global_load_dwordx2 v[42:43], v11, s[4:5] offset:32
	global_load_dwordx4 v[58:61], v11, s[4:5] offset:16
	v_mul_u32_u24_sdwa v11, v27, s2 dst_sel:DWORD dst_unused:UNUSED_PAD src0_sel:WORD_0 src1_sel:DWORD
	v_lshrrev_b32_e32 v11, 20, v11
	v_mul_lo_u16_e32 v11, 17, v11
	v_sub_u16_e32 v91, v27, v11
	v_mul_u32_u24_e32 v11, 5, v91
	v_lshlrev_b32_e32 v11, 3, v11
	global_load_dwordx4 v[66:69], v11, s[4:5]
	global_load_dwordx4 v[70:73], v11, s[4:5] offset:16
	global_load_dwordx2 v[62:63], v11, s[4:5] offset:32
	s_movk_i32 s2, 0x198
	s_waitcnt lgkmcnt(0)
	s_barrier
	s_waitcnt vmcnt(8)
	v_mul_f32_e32 v34, v21, v49
	s_waitcnt vmcnt(7)
	v_mul_f32_e32 v33, v17, v53
	v_fmac_f32_e32 v33, v77, v52
	v_mul_f32_e32 v37, v77, v53
	v_mul_f32_e32 v45, v19, v47
	;; [unrolled: 1-line block ×4, first 2 shown]
	v_fmac_f32_e32 v34, v81, v48
	s_waitcnt vmcnt(2)
	v_mul_f32_e32 v11, v87, v69
	s_waitcnt vmcnt(1)
	v_mul_f32_e32 v40, v64, v71
	v_mul_f32_e32 v71, v8, v71
	v_fmac_f32_e32 v40, v8, v70
	s_waitcnt vmcnt(0)
	v_mul_f32_e32 v8, v85, v63
	v_mul_f32_e32 v44, v25, v63
	v_fma_f32 v25, v25, v62, -v8
	v_add_f32_e32 v8, v126, v33
	v_mul_f32_e32 v30, v13, v51
	v_mul_f32_e32 v29, v75, v51
	;; [unrolled: 1-line block ×5, first 2 shown]
	v_fma_f32 v39, v17, v52, -v37
	v_fma_f32 v37, v19, v46, -v41
	;; [unrolled: 1-line block ×3, first 2 shown]
	v_fmac_f32_e32 v11, v15, v68
	v_add_f32_e32 v15, v8, v34
	v_add_f32_e32 v8, v33, v34
	v_mul_f32_e32 v27, v16, v55
	v_mul_f32_e32 v53, v76, v55
	;; [unrolled: 1-line block ×6, first 2 shown]
	v_fmac_f32_e32 v30, v75, v50
	v_fmac_f32_e32 v45, v79, v46
	v_fmac_f32_e32 v126, -0.5, v8
	v_sub_f32_e32 v8, v39, v41
	v_fma_f32 v35, v13, v50, -v29
	v_fmac_f32_e32 v49, v83, v38
	v_fma_f32 v13, v16, v54, -v53
	v_fma_f32 v16, v20, v58, -v59
	v_fmamk_f32 v20, v8, 0xbf5db3d7, v126
	v_fmac_f32_e32 v126, 0x3f5db3d7, v8
	v_add_f32_e32 v8, v30, v45
	v_mul_f32_e32 v24, v65, v73
	v_fma_f32 v21, v23, v38, -v51
	v_add_f32_e32 v38, v8, v49
	v_add_f32_e32 v8, v45, v49
	v_mul_f32_e32 v73, v9, v73
	v_fmac_f32_e32 v24, v9, v72
	v_fmac_f32_e32 v30, -0.5, v8
	v_sub_f32_e32 v9, v37, v21
	v_mul_f32_e32 v92, v28, v43
	v_mul_f32_e32 v43, v127, v43
	v_fmamk_f32 v8, v9, 0xbf5db3d7, v30
	v_fmac_f32_e32 v30, 0x3f5db3d7, v9
	v_add_f32_e32 v9, v37, v21
	v_mul_f32_e32 v32, v22, v61
	v_mul_f32_e32 v36, v86, v67
	v_fmac_f32_e32 v31, v78, v56
	v_fmac_f32_e32 v92, v127, v42
	v_fma_f32 v17, v28, v42, -v43
	v_fma_f32 v9, -0.5, v9, v35
	v_sub_f32_e32 v42, v45, v49
	v_mul_f32_e32 v61, v82, v61
	v_mul_f32_e32 v67, v14, v67
	v_fmac_f32_e32 v32, v82, v60
	v_fmac_f32_e32 v36, v14, v66
	v_fmamk_f32 v14, v42, 0x3f5db3d7, v9
	v_add_f32_e32 v46, v15, v38
	v_sub_f32_e32 v51, v15, v38
	v_add_f32_e32 v15, v74, v31
	v_fma_f32 v18, v18, v56, -v55
	v_fma_f32 v19, v22, v60, -v61
	v_fmac_f32_e32 v9, 0xbf5db3d7, v42
	v_mul_f32_e32 v42, 0xbf5db3d7, v14
	v_add_f32_e32 v38, v15, v32
	v_add_f32_e32 v15, v31, v32
	v_fmac_f32_e32 v27, v76, v54
	v_fmac_f32_e32 v57, v80, v58
	v_fmac_f32_e32 v42, 0.5, v8
	v_mul_f32_e32 v43, 0xbf5db3d7, v9
	v_fmac_f32_e32 v74, -0.5, v15
	v_sub_f32_e32 v15, v18, v19
	v_add_f32_e32 v48, v20, v42
	v_fmac_f32_e32 v43, -0.5, v30
	v_sub_f32_e32 v52, v20, v42
	v_fmamk_f32 v42, v15, 0xbf5db3d7, v74
	v_fmac_f32_e32 v74, 0x3f5db3d7, v15
	v_add_f32_e32 v15, v27, v57
	v_add_f32_e32 v50, v126, v43
	v_sub_f32_e32 v53, v126, v43
	v_add_f32_e32 v43, v15, v92
	v_add_f32_e32 v15, v57, v92
	v_fmac_f32_e32 v27, -0.5, v15
	v_sub_f32_e32 v20, v16, v17
	v_fmamk_f32 v15, v20, 0xbf5db3d7, v27
	v_fmac_f32_e32 v27, 0x3f5db3d7, v20
	v_add_f32_e32 v20, v16, v17
	v_fma_f32 v20, -0.5, v20, v13
	v_sub_f32_e32 v45, v57, v92
	v_fmac_f32_e32 v44, v85, v62
	v_fmamk_f32 v49, v45, 0x3f5db3d7, v20
	v_fma_f32 v23, v64, v70, -v71
	v_fmac_f32_e32 v20, 0xbf5db3d7, v45
	v_add_f32_e32 v54, v38, v43
	v_mul_f32_e32 v45, 0xbf5db3d7, v49
	v_sub_f32_e32 v57, v38, v43
	v_add_f32_e32 v38, v40, v44
	v_fmac_f32_e32 v45, 0.5, v15
	v_mul_f32_e32 v47, 0xbf5db3d7, v20
	v_fma_f32 v38, -0.5, v38, v36
	v_sub_f32_e32 v43, v23, v25
	v_fma_f32 v22, v86, v66, -v67
	v_add_f32_e32 v55, v42, v45
	v_fmac_f32_e32 v47, -0.5, v27
	v_sub_f32_e32 v58, v42, v45
	v_fmamk_f32 v42, v43, 0xbf5db3d7, v38
	v_fmac_f32_e32 v38, 0x3f5db3d7, v43
	v_add_f32_e32 v43, v23, v25
	v_add_f32_e32 v56, v74, v47
	v_sub_f32_e32 v59, v74, v47
	v_fma_f32 v43, -0.5, v43, v22
	v_sub_f32_e32 v47, v40, v44
	v_mov_b32_e32 v60, 2
	v_fmamk_f32 v45, v47, 0x3f5db3d7, v43
	v_fmac_f32_e32 v43, 0xbf5db3d7, v47
	v_mad_u32_u24 v47, v84, s2, 0
	v_lshlrev_b32_sdwa v61, v60, v88 dst_sel:DWORD dst_unused:UNUSED_PAD src0_sel:DWORD src1_sel:BYTE_0
	v_add3_u32 v47, v47, v61, v1
	ds_write2_b32 v47, v46, v48 offset1:17
	ds_write2_b32 v47, v50, v51 offset0:34 offset1:51
	ds_write2_b32 v47, v52, v53 offset0:68 offset1:85
	v_mad_u32_u24 v46, v89, s2, 0
	v_lshlrev_b32_sdwa v48, v60, v90 dst_sel:DWORD dst_unused:UNUSED_PAD src0_sel:DWORD src1_sel:BYTE_0
	v_fma_f32 v28, v87, v68, -v69
	v_fma_f32 v29, v65, v72, -v73
	v_add3_u32 v48, v46, v48, v1
	v_lshlrev_b32_e32 v46, 2, v91
	ds_write2_b32 v48, v54, v55 offset1:17
	ds_write2_b32 v48, v56, v57 offset0:34 offset1:51
	ds_write2_b32 v48, v58, v59 offset0:68 offset1:85
	s_and_saveexec_b64 s[2:3], vcc
	s_cbranch_execz .LBB0_23
; %bb.22:
	v_add_f32_e32 v50, v11, v24
	v_fma_f32 v50, -0.5, v50, v6
	v_sub_f32_e32 v51, v28, v29
	v_add_f32_e32 v6, v6, v11
	v_add_f32_e32 v36, v36, v40
	v_fmamk_f32 v52, v51, 0x3f5db3d7, v50
	v_fmac_f32_e32 v50, 0xbf5db3d7, v51
	v_mul_f32_e32 v51, 0xbf5db3d7, v45
	v_add_f32_e32 v6, v6, v24
	v_add_f32_e32 v36, v36, v44
	v_mul_f32_e32 v53, 0xbf5db3d7, v43
	v_fmac_f32_e32 v51, 0.5, v42
	v_sub_f32_e32 v40, v6, v36
	v_add_f32_e32 v6, v6, v36
	v_add3_u32 v36, 0, v46, v1
	v_fmac_f32_e32 v53, -0.5, v38
	v_sub_f32_e32 v55, v50, v51
	v_add_f32_e32 v50, v50, v51
	v_add_u32_e32 v51, 0x1000, v36
	v_sub_f32_e32 v54, v52, v53
	v_add_f32_e32 v44, v52, v53
	ds_write2_b32 v51, v6, v50 offset0:200 offset1:217
	ds_write2_b32 v51, v44, v40 offset0:234 offset1:251
	v_add_u32_e32 v6, 0x1400, v36
	ds_write2_b32 v6, v55, v54 offset0:12 offset1:29
.LBB0_23:
	s_or_b64 exec, exec, s[2:3]
	v_add_f32_e32 v36, v39, v41
	v_mul_f32_e32 v14, 0.5, v14
	v_add_f32_e32 v6, v7, v39
	v_fmac_f32_e32 v7, -0.5, v36
	v_sub_f32_e32 v33, v33, v34
	v_fmac_f32_e32 v14, 0x3f5db3d7, v8
	v_mul_f32_e32 v8, -0.5, v9
	v_fmamk_f32 v34, v33, 0x3f5db3d7, v7
	v_fmac_f32_e32 v7, 0xbf5db3d7, v33
	v_add_f32_e32 v33, v35, v37
	v_fmac_f32_e32 v8, 0x3f5db3d7, v30
	v_add_f32_e32 v6, v6, v41
	v_add_f32_e32 v21, v33, v21
	;; [unrolled: 1-line block ×3, first 2 shown]
	v_sub_f32_e32 v7, v7, v8
	v_add_f32_e32 v8, v18, v19
	v_add_f32_e32 v33, v6, v21
	v_sub_f32_e32 v36, v6, v21
	v_add_f32_e32 v6, v12, v18
	v_fmac_f32_e32 v12, -0.5, v8
	v_sub_f32_e32 v8, v31, v32
	v_add_f32_e32 v35, v34, v14
	v_sub_f32_e32 v34, v34, v14
	v_fmamk_f32 v9, v8, 0x3f5db3d7, v12
	v_fmac_f32_e32 v12, 0xbf5db3d7, v8
	v_add_f32_e32 v8, v13, v16
	v_mul_f32_e32 v14, -0.5, v20
	v_add_f32_e32 v6, v6, v19
	v_add_f32_e32 v8, v8, v17
	v_mul_f32_e32 v13, 0.5, v49
	v_fmac_f32_e32 v14, 0x3f5db3d7, v27
	v_add_f32_e32 v31, v6, v8
	v_fmac_f32_e32 v13, 0x3f5db3d7, v15
	v_add_f32_e32 v27, v12, v14
	v_sub_f32_e32 v37, v6, v8
	v_sub_f32_e32 v40, v12, v14
	v_add_u32_e32 v8, 0x400, v5
	v_add_u32_e32 v12, 0x600, v5
	;; [unrolled: 1-line block ×5, first 2 shown]
	v_add_f32_e32 v32, v9, v13
	v_sub_f32_e32 v39, v9, v13
	s_waitcnt lgkmcnt(0)
	s_barrier
	ds_read_b32 v6, v26
	ds_read2_b32 v[16:17], v5 offset0:102 offset1:204
	ds_read2_b32 v[8:9], v8 offset0:50 offset1:152
	;; [unrolled: 1-line block ×6, first 2 shown]
	s_waitcnt lgkmcnt(0)
	s_barrier
	ds_write2_b32 v47, v33, v35 offset1:17
	ds_write2_b32 v47, v30, v36 offset0:34 offset1:51
	ds_write2_b32 v47, v34, v7 offset0:68 offset1:85
	ds_write2_b32 v48, v31, v32 offset1:17
	ds_write2_b32 v48, v27, v37 offset0:34 offset1:51
	ds_write2_b32 v48, v39, v40 offset0:68 offset1:85
	s_and_saveexec_b64 s[2:3], vcc
	s_cbranch_execz .LBB0_25
; %bb.24:
	v_add_f32_e32 v27, v28, v29
	v_add_f32_e32 v7, v10, v28
	v_fmac_f32_e32 v10, -0.5, v27
	v_sub_f32_e32 v11, v11, v24
	v_fmamk_f32 v24, v11, 0x3f5db3d7, v10
	v_fmamk_f32 v10, v11, 0xbf5db3d7, v10
	v_add_f32_e32 v11, v22, v23
	v_mul_f32_e32 v23, 0.5, v45
	v_mul_f32_e32 v27, -0.5, v43
	v_add_f32_e32 v7, v7, v29
	v_add_f32_e32 v11, v11, v25
	v_fmac_f32_e32 v23, 0x3f5db3d7, v42
	v_fmac_f32_e32 v27, 0x3f5db3d7, v38
	v_add3_u32 v1, 0, v46, v1
	v_add_f32_e32 v22, v7, v11
	v_add_f32_e32 v25, v24, v23
	;; [unrolled: 1-line block ×3, first 2 shown]
	v_sub_f32_e32 v7, v7, v11
	v_sub_f32_e32 v11, v24, v23
	;; [unrolled: 1-line block ×3, first 2 shown]
	v_add_u32_e32 v23, 0x1000, v1
	v_add_u32_e32 v1, 0x1400, v1
	ds_write2_b32 v23, v22, v25 offset0:200 offset1:217
	ds_write2_b32 v23, v28, v7 offset0:234 offset1:251
	;; [unrolled: 1-line block ×3, first 2 shown]
.LBB0_25:
	s_or_b64 exec, exec, s[2:3]
	s_waitcnt lgkmcnt(0)
	s_barrier
	s_and_saveexec_b64 s[2:3], s[0:1]
	s_cbranch_execz .LBB0_27
; %bb.26:
	v_mul_u32_u24_e32 v0, 12, v0
	v_lshlrev_b32_e32 v0, 3, v0
	global_load_dwordx4 v[22:25], v0, s[4:5] offset:760
	global_load_dwordx4 v[28:31], v0, s[4:5] offset:744
	;; [unrolled: 1-line block ×6, first 2 shown]
	v_add_u32_e32 v27, 0x1000, v5
	ds_read2_b32 v[10:11], v5 offset0:102 offset1:204
	ds_read_b32 v7, v26
	v_add_u32_e32 v49, 0x400, v5
	v_add_u32_e32 v51, 0xc00, v5
	;; [unrolled: 1-line block ×4, first 2 shown]
	ds_read2_b32 v[66:67], v27 offset0:98 offset1:200
	ds_read2_b32 v[68:69], v49 offset0:50 offset1:152
	;; [unrolled: 1-line block ×5, first 2 shown]
	v_mov_b32_e32 v5, 0
	v_lshl_add_u64 v[0:1], v[2:3], 3, s[8:9]
	s_waitcnt lgkmcnt(4)
	v_mov_b32_e32 v76, v67
	s_waitcnt lgkmcnt(2)
	v_mov_b32_e32 v78, v71
	v_mov_b32_e32 v2, v21
	;; [unrolled: 1-line block ×7, first 2 shown]
	v_lshl_add_u64 v[0:1], v[4:5], 3, v[0:1]
	v_mov_b32_e32 v4, v11
	s_waitcnt lgkmcnt(0)
	v_mov_b32_e32 v84, v75
	v_mov_b32_e32 v86, v73
	;; [unrolled: 1-line block ×9, first 2 shown]
	s_mov_b32 s0, 0xbeedf032
	s_mov_b32 s4, 0x3f62ad3f
	s_mov_b32 s14, 0xbf52af12
	s_mov_b32 s2, 0x3f116cb1
	s_mov_b32 s22, 0xbf7e222b
	s_mov_b32 s8, 0xbf6f5d39
	s_mov_b32 s6, 0xbeb58ec6
	s_mov_b32 s12, 0xbf29c268
	s_mov_b32 s10, 0xbf3f9e67
	s_mov_b32 s18, 0xbe750f2a
	s_mov_b32 s16, 0xbf788fa5
	s_mov_b32 s26, 0x3f29c268
	s_mov_b32 s20, 0x3f7e222b
	s_mov_b32 s24, 0x3eedf032
	s_mov_b32 s28, 0x3f6f5d39
	s_waitcnt vmcnt(5)
	v_pk_mul_f32 v[76:77], v[76:77], v[24:25] op_sel_hi:[0,1]
	v_pk_mul_f32 v[66:67], v[66:67], v[22:23] op_sel_hi:[0,1]
	s_waitcnt vmcnt(4)
	v_pk_mul_f32 v[78:79], v[78:79], v[30:31] op_sel_hi:[0,1]
	v_pk_mul_f32 v[70:71], v[70:71], v[28:29] op_sel_hi:[0,1]
	s_waitcnt vmcnt(3)
	v_mov_b32_e32 v88, v35
	s_waitcnt vmcnt(0)
	v_pk_mul_f32 v[16:17], v[16:17], v[44:45] op_sel_hi:[0,1]
	v_mov_b32_e32 v89, v34
	v_pk_mul_f32 v[34:35], v[52:53], v[34:35] op_sel_hi:[0,1]
	v_pk_mul_f32 v[52:53], v[84:85], v[38:39] op_sel_hi:[0,1]
	v_pk_mul_f32 v[72:73], v[72:73], v[40:41] op_sel_hi:[0,1]
	v_pk_mul_f32 v[74:75], v[74:75], v[36:37] op_sel_hi:[0,1]
	v_pk_mul_f32 v[84:85], v[86:87], v[42:43] op_sel_hi:[0,1]
	v_pk_mul_f32 v[4:5], v[4:5], v[46:47] op_sel_hi:[0,1]
	v_pk_fma_f32 v[86:87], v[2:3], v[24:25], v[76:77] op_sel:[0,0,1] op_sel_hi:[1,1,0]
	v_pk_fma_f32 v[2:3], v[26:27], v[24:25], v[76:77] op_sel:[0,0,1] op_sel_hi:[0,1,0] neg_lo:[1,0,0] neg_hi:[1,0,0]
	v_pk_fma_f32 v[76:77], v[20:21], v[22:23], v[66:67] op_sel:[0,0,1] op_sel_hi:[1,1,0]
	v_pk_fma_f32 v[20:21], v[20:21], v[22:23], v[66:67] op_sel:[0,0,1] op_sel_hi:[0,1,0] neg_lo:[1,0,0] neg_hi:[1,0,0]
	v_pk_fma_f32 v[22:23], v[50:51], v[30:31], v[78:79] op_sel:[0,0,1] op_sel_hi:[0,1,0] neg_lo:[1,0,0] neg_hi:[1,0,0]
	v_pk_fma_f32 v[50:51], v[10:11], v[44:45], v[16:17] op_sel:[0,1,0] op_sel_hi:[1,0,1]
	v_pk_fma_f32 v[10:11], v[10:11], v[44:45], v[16:17] op_sel:[0,1,0] op_sel_hi:[0,0,1] neg_lo:[0,0,1] neg_hi:[0,0,1]
	v_pk_fma_f32 v[48:49], v[48:49], v[30:31], v[78:79] op_sel:[0,0,1] op_sel_hi:[1,1,0]
	v_pk_fma_f32 v[30:31], v[18:19], v[28:29], v[70:71] op_sel:[0,0,1] op_sel_hi:[1,1,0]
	v_pk_fma_f32 v[18:19], v[18:19], v[28:29], v[70:71] op_sel:[0,0,1] op_sel_hi:[0,1,0] neg_lo:[1,0,0] neg_hi:[1,0,0]
	v_pk_fma_f32 v[28:29], v[80:81], v[88:89], v[34:35]
	v_pk_fma_f32 v[24:25], v[82:83], v[88:89], v[34:35] op_sel_hi:[0,1,1] neg_lo:[0,0,1] neg_hi:[0,0,1]
	v_pk_fma_f32 v[34:35], v[54:55], v[38:39], v[52:53] op_sel:[0,0,1] op_sel_hi:[1,1,0]
	v_pk_fma_f32 v[26:27], v[56:57], v[38:39], v[52:53] op_sel:[0,0,1] op_sel_hi:[0,1,0] neg_lo:[1,0,0] neg_hi:[1,0,0]
	v_pk_fma_f32 v[38:39], v[12:13], v[40:41], v[72:73] op_sel:[0,0,1] op_sel_hi:[1,1,0]
	v_pk_fma_f32 v[12:13], v[12:13], v[40:41], v[72:73] op_sel:[0,0,1] op_sel_hi:[0,1,0] neg_lo:[1,0,0] neg_hi:[1,0,0]
	v_pk_fma_f32 v[40:41], v[14:15], v[36:37], v[74:75] op_sel:[0,0,1] op_sel_hi:[1,1,0]
	v_pk_fma_f32 v[14:15], v[14:15], v[36:37], v[74:75] op_sel:[0,0,1] op_sel_hi:[0,1,0] neg_lo:[1,0,0] neg_hi:[1,0,0]
	v_pk_fma_f32 v[36:37], v[58:59], v[42:43], v[84:85] op_sel:[0,0,1] op_sel_hi:[1,1,0]
	v_pk_fma_f32 v[58:59], v[62:63], v[46:47], v[4:5] op_sel:[0,0,1] op_sel_hi:[1,1,0]
	v_mov_b32_e32 v87, v3
	v_mov_b32_e32 v51, v11
	v_pk_fma_f32 v[2:3], v[64:65], v[46:47], v[4:5] op_sel:[0,0,1] op_sel_hi:[0,1,0] neg_lo:[1,0,0] neg_hi:[1,0,0]
	v_pk_fma_f32 v[42:43], v[60:61], v[42:43], v[84:85] op_sel:[0,0,1] op_sel_hi:[0,1,0] neg_lo:[1,0,0] neg_hi:[1,0,0]
	v_mov_b32_e32 v59, v3
	v_pk_mul_f32 v[2:3], v[68:69], v[32:33] op_sel_hi:[0,1]
	v_pk_add_f32 v[70:71], v[50:51], v[86:87] neg_lo:[0,1] neg_hi:[0,1]
	v_mov_b32_e32 v77, v21
	v_mov_b32_e32 v37, v43
	v_pk_fma_f32 v[42:43], v[8:9], v[32:33], v[2:3] op_sel:[0,0,1] op_sel_hi:[1,1,0]
	v_pk_fma_f32 v[2:3], v[8:9], v[32:33], v[2:3] op_sel:[0,0,1] op_sel_hi:[0,1,0] neg_lo:[1,0,0] neg_hi:[1,0,0]
	v_pk_add_f32 v[72:73], v[50:51], v[86:87]
	v_pk_mul_f32 v[4:5], v[70:71], s[0:1] op_sel_hi:[1,0]
	v_mov_b32_e32 v43, v3
	v_pk_add_f32 v[74:75], v[58:59], v[76:77] neg_lo:[0,1] neg_hi:[0,1]
	v_pk_fma_f32 v[2:3], v[72:73], s[4:5], v[4:5] op_sel:[0,0,1] op_sel_hi:[1,0,0]
	v_pk_fma_f32 v[4:5], v[72:73], s[4:5], v[4:5] op_sel:[0,0,1] op_sel_hi:[1,0,0] neg_lo:[0,0,1] neg_hi:[0,0,1]
	v_pk_add_f32 v[68:69], v[58:59], v[76:77]
	v_mov_b32_e32 v8, v2
	v_mov_b32_e32 v9, v5
	v_pk_mul_f32 v[10:11], v[74:75], s[14:15] op_sel_hi:[1,0]
	v_mov_b32_e32 v49, v23
	v_mov_b32_e32 v39, v13
	v_pk_add_f32 v[12:13], v[6:7], v[8:9]
	v_pk_fma_f32 v[8:9], v[68:69], s[2:3], v[10:11] op_sel:[0,0,1] op_sel_hi:[1,0,0]
	v_pk_fma_f32 v[10:11], v[68:69], s[2:3], v[10:11] op_sel:[0,0,1] op_sel_hi:[1,0,0] neg_lo:[0,0,1] neg_hi:[0,0,1]
	v_mov_b32_e32 v41, v15
	v_pk_add_f32 v[66:67], v[42:43], v[48:49] neg_lo:[0,1] neg_hi:[0,1]
	v_mov_b32_e32 v14, v8
	v_mov_b32_e32 v15, v11
	v_pk_add_f32 v[32:33], v[6:7], v[50:51]
	v_pk_add_f32 v[64:65], v[42:43], v[48:49]
	;; [unrolled: 1-line block ×3, first 2 shown]
	s_mov_b32 s0, 0x3df6dbef
	v_pk_mul_f32 v[14:15], v[66:67], s[22:23] op_sel_hi:[1,0]
	v_mov_b32_e32 v31, v19
	v_mov_b32_e32 v29, v25
	v_pk_fma_f32 v[12:13], v[64:65], s[0:1], v[14:15] op_sel:[0,0,1] op_sel_hi:[1,0,0]
	v_pk_fma_f32 v[14:15], v[64:65], s[0:1], v[14:15] op_sel:[0,0,1] op_sel_hi:[1,0,0] neg_lo:[0,0,1] neg_hi:[0,0,1]
	v_pk_add_f32 v[32:33], v[32:33], v[58:59]
	v_pk_add_f32 v[62:63], v[28:29], v[30:31] neg_lo:[0,1] neg_hi:[0,1]
	v_mov_b32_e32 v18, v12
	v_mov_b32_e32 v19, v15
	v_pk_add_f32 v[32:33], v[32:33], v[42:43]
	v_pk_add_f32 v[56:57], v[28:29], v[30:31]
	;; [unrolled: 1-line block ×3, first 2 shown]
	v_pk_mul_f32 v[18:19], v[62:63], s[8:9] op_sel_hi:[1,0]
	v_pk_add_f32 v[28:29], v[32:33], v[28:29]
	v_mov_b32_e32 v35, v27
	v_pk_fma_f32 v[16:17], v[56:57], s[6:7], v[18:19] op_sel:[0,0,1] op_sel_hi:[1,0,0]
	v_pk_fma_f32 v[18:19], v[56:57], s[6:7], v[18:19] op_sel:[0,0,1] op_sel_hi:[1,0,0] neg_lo:[0,0,1] neg_hi:[0,0,1]
	v_pk_add_f32 v[28:29], v[28:29], v[38:39]
	v_pk_add_f32 v[54:55], v[38:39], v[34:35] neg_lo:[0,1] neg_hi:[0,1]
	v_mov_b32_e32 v22, v16
	v_mov_b32_e32 v23, v19
	v_pk_add_f32 v[28:29], v[28:29], v[36:37]
	v_pk_add_f32 v[52:53], v[38:39], v[34:35]
	;; [unrolled: 1-line block ×3, first 2 shown]
	v_pk_mul_f32 v[22:23], v[54:55], s[12:13] op_sel_hi:[1,0]
	v_pk_add_f32 v[28:29], v[28:29], v[40:41]
	v_pk_fma_f32 v[20:21], v[52:53], s[10:11], v[22:23] op_sel:[0,0,1] op_sel_hi:[1,0,0]
	v_pk_fma_f32 v[22:23], v[52:53], s[10:11], v[22:23] op_sel:[0,0,1] op_sel_hi:[1,0,0] neg_lo:[0,0,1] neg_hi:[0,0,1]
	v_pk_add_f32 v[28:29], v[34:35], v[28:29]
	v_pk_add_f32 v[46:47], v[36:37], v[40:41] neg_lo:[0,1] neg_hi:[0,1]
	v_mov_b32_e32 v26, v20
	v_mov_b32_e32 v27, v23
	v_pk_add_f32 v[28:29], v[30:31], v[28:29]
	v_pk_add_f32 v[44:45], v[36:37], v[40:41]
	;; [unrolled: 1-line block ×3, first 2 shown]
	v_pk_mul_f32 v[26:27], v[46:47], s[18:19] op_sel_hi:[1,0]
	v_pk_add_f32 v[28:29], v[48:49], v[28:29]
	v_pk_fma_f32 v[24:25], v[44:45], s[16:17], v[26:27] op_sel:[0,0,1] op_sel_hi:[1,0,0]
	v_pk_fma_f32 v[26:27], v[44:45], s[16:17], v[26:27] op_sel:[0,0,1] op_sel_hi:[1,0,0] neg_lo:[0,0,1] neg_hi:[0,0,1]
	v_pk_add_f32 v[28:29], v[76:77], v[28:29]
	v_mov_b32_e32 v60, v24
	v_mov_b32_e32 v61, v27
	v_pk_add_f32 v[28:29], v[86:87], v[28:29]
	v_pk_mul_f32 v[30:31], v[70:71], s[14:15] op_sel_hi:[1,0]
	v_pk_add_f32 v[50:51], v[50:51], v[60:61]
	global_store_dwordx2 v[0:1], v[28:29], off
	global_store_dwordx2 v[0:1], v[50:51], off offset:816
	v_pk_fma_f32 v[28:29], v[72:73], s[2:3], v[30:31] op_sel:[0,0,1] op_sel_hi:[1,0,0]
	v_pk_fma_f32 v[30:31], v[72:73], s[2:3], v[30:31] op_sel:[0,0,1] op_sel_hi:[1,0,0] neg_lo:[0,0,1] neg_hi:[0,0,1]
	v_mov_b32_e32 v32, v28
	v_mov_b32_e32 v33, v31
	v_pk_mul_f32 v[34:35], v[74:75], s[8:9] op_sel_hi:[1,0]
	v_pk_add_f32 v[36:37], v[6:7], v[32:33]
	v_pk_fma_f32 v[32:33], v[68:69], s[6:7], v[34:35] op_sel:[0,0,1] op_sel_hi:[1,0,0]
	v_pk_fma_f32 v[34:35], v[68:69], s[6:7], v[34:35] op_sel:[0,0,1] op_sel_hi:[1,0,0] neg_lo:[0,0,1] neg_hi:[0,0,1]
	v_mov_b32_e32 v38, v32
	v_mov_b32_e32 v39, v35
	v_pk_add_f32 v[40:41], v[36:37], v[38:39]
	v_pk_mul_f32 v[38:39], v[66:67], s[18:19] op_sel_hi:[1,0]
	v_pk_mul_f32 v[82:83], v[74:75], s[18:19] op_sel_hi:[1,0]
	v_pk_fma_f32 v[36:37], v[64:65], s[16:17], v[38:39] op_sel:[0,0,1] op_sel_hi:[1,0,0]
	v_pk_fma_f32 v[38:39], v[64:65], s[16:17], v[38:39] op_sel:[0,0,1] op_sel_hi:[1,0,0] neg_lo:[0,0,1] neg_hi:[0,0,1]
	v_mov_b32_e32 v42, v36
	v_mov_b32_e32 v43, v39
	v_pk_add_f32 v[48:49], v[40:41], v[42:43]
	v_pk_mul_f32 v[42:43], v[62:63], s[26:27] op_sel_hi:[1,0]
	v_pk_fma_f32 v[84:85], v[68:69], s[16:17], v[82:83] op_sel:[0,0,1] op_sel_hi:[1,0,0]
	v_pk_fma_f32 v[40:41], v[56:57], s[10:11], v[42:43] op_sel:[0,0,1] op_sel_hi:[1,0,0]
	v_pk_fma_f32 v[42:43], v[56:57], s[10:11], v[42:43] op_sel:[0,0,1] op_sel_hi:[1,0,0] neg_lo:[0,0,1] neg_hi:[0,0,1]
	v_mov_b32_e32 v50, v40
	v_mov_b32_e32 v51, v43
	v_pk_add_f32 v[58:59], v[48:49], v[50:51]
	v_pk_mul_f32 v[50:51], v[54:55], s[20:21] op_sel_hi:[1,0]
	v_pk_fma_f32 v[82:83], v[68:69], s[16:17], v[82:83] op_sel:[0,0,1] op_sel_hi:[1,0,0] neg_lo:[0,0,1] neg_hi:[0,0,1]
	v_pk_fma_f32 v[48:49], v[52:53], s[0:1], v[50:51] op_sel:[0,0,1] op_sel_hi:[1,0,0]
	v_pk_fma_f32 v[50:51], v[52:53], s[0:1], v[50:51] op_sel:[0,0,1] op_sel_hi:[1,0,0] neg_lo:[0,0,1] neg_hi:[0,0,1]
	v_mov_b32_e32 v60, v48
	v_mov_b32_e32 v61, v51
	v_pk_add_f32 v[76:77], v[58:59], v[60:61]
	v_pk_mul_f32 v[60:61], v[46:47], s[24:25] op_sel_hi:[1,0]
	v_mov_b32_e32 v86, v84
	v_pk_fma_f32 v[58:59], v[44:45], s[4:5], v[60:61] op_sel:[0,0,1] op_sel_hi:[1,0,0]
	v_pk_fma_f32 v[60:61], v[44:45], s[4:5], v[60:61] op_sel:[0,0,1] op_sel_hi:[1,0,0] neg_lo:[0,0,1] neg_hi:[0,0,1]
	v_mov_b32_e32 v78, v58
	v_mov_b32_e32 v79, v61
	v_pk_add_f32 v[76:77], v[76:77], v[78:79]
	global_store_dwordx2 v[0:1], v[76:77], off offset:1632
	v_pk_mul_f32 v[76:77], v[70:71], s[22:23] op_sel_hi:[1,0]
	v_mov_b32_e32 v87, v83
	v_pk_fma_f32 v[78:79], v[72:73], s[0:1], v[76:77] op_sel:[0,0,1] op_sel_hi:[1,0,0]
	v_pk_fma_f32 v[76:77], v[72:73], s[0:1], v[76:77] op_sel:[0,0,1] op_sel_hi:[1,0,0] neg_lo:[0,0,1] neg_hi:[0,0,1]
	v_mov_b32_e32 v80, v78
	v_mov_b32_e32 v81, v77
	v_pk_add_f32 v[80:81], v[6:7], v[80:81]
	v_pk_mul_f32 v[106:107], v[74:75], s[26:27] op_sel_hi:[1,0]
	v_pk_add_f32 v[80:81], v[80:81], v[86:87]
	v_pk_mul_f32 v[86:87], v[66:67], s[28:29] op_sel_hi:[1,0]
	v_pk_fma_f32 v[108:109], v[68:69], s[10:11], v[106:107] op_sel:[0,0,1] op_sel_hi:[1,0,0]
	v_pk_fma_f32 v[88:89], v[64:65], s[6:7], v[86:87] op_sel:[0,0,1] op_sel_hi:[1,0,0]
	v_pk_fma_f32 v[86:87], v[64:65], s[6:7], v[86:87] op_sel:[0,0,1] op_sel_hi:[1,0,0] neg_lo:[0,0,1] neg_hi:[0,0,1]
	v_mov_b32_e32 v90, v88
	v_mov_b32_e32 v91, v87
	v_pk_add_f32 v[80:81], v[80:81], v[90:91]
	v_pk_mul_f32 v[90:91], v[62:63], s[24:25] op_sel_hi:[1,0]
	v_pk_fma_f32 v[106:107], v[68:69], s[10:11], v[106:107] op_sel:[0,0,1] op_sel_hi:[1,0,0] neg_lo:[0,0,1] neg_hi:[0,0,1]
	v_pk_fma_f32 v[92:93], v[56:57], s[4:5], v[90:91] op_sel:[0,0,1] op_sel_hi:[1,0,0]
	v_pk_fma_f32 v[90:91], v[56:57], s[4:5], v[90:91] op_sel:[0,0,1] op_sel_hi:[1,0,0] neg_lo:[0,0,1] neg_hi:[0,0,1]
	v_mov_b32_e32 v94, v92
	v_mov_b32_e32 v95, v91
	v_pk_add_f32 v[80:81], v[80:81], v[94:95]
	v_pk_mul_f32 v[94:95], v[54:55], s[14:15] op_sel_hi:[1,0]
	v_mov_b32_e32 v110, v108
	v_pk_fma_f32 v[96:97], v[52:53], s[2:3], v[94:95] op_sel:[0,0,1] op_sel_hi:[1,0,0]
	v_pk_fma_f32 v[94:95], v[52:53], s[2:3], v[94:95] op_sel:[0,0,1] op_sel_hi:[1,0,0] neg_lo:[0,0,1] neg_hi:[0,0,1]
	v_mov_b32_e32 v98, v96
	v_mov_b32_e32 v99, v95
	v_pk_add_f32 v[80:81], v[80:81], v[98:99]
	v_pk_mul_f32 v[98:99], v[46:47], s[12:13] op_sel_hi:[1,0]
	v_mov_b32_e32 v111, v107
	v_pk_fma_f32 v[100:101], v[44:45], s[10:11], v[98:99] op_sel:[0,0,1] op_sel_hi:[1,0,0]
	v_pk_fma_f32 v[98:99], v[44:45], s[10:11], v[98:99] op_sel:[0,0,1] op_sel_hi:[1,0,0] neg_lo:[0,0,1] neg_hi:[0,0,1]
	v_mov_b32_e32 v102, v100
	v_mov_b32_e32 v103, v99
	v_pk_add_f32 v[80:81], v[80:81], v[102:103]
	global_store_dwordx2 v[0:1], v[80:81], off offset:2448
	v_pk_mul_f32 v[80:81], v[70:71], s[8:9] op_sel_hi:[1,0]
	s_mov_b32 s26, 0x3f52af12
	v_pk_fma_f32 v[102:103], v[72:73], s[6:7], v[80:81] op_sel:[0,0,1] op_sel_hi:[1,0,0]
	v_pk_fma_f32 v[80:81], v[72:73], s[6:7], v[80:81] op_sel:[0,0,1] op_sel_hi:[1,0,0] neg_lo:[0,0,1] neg_hi:[0,0,1]
	v_mov_b32_e32 v104, v102
	v_mov_b32_e32 v105, v81
	v_pk_add_f32 v[104:105], v[6:7], v[104:105]
	v_pk_mul_f32 v[130:131], v[74:75], s[20:21] op_sel_hi:[1,0]
	v_pk_add_f32 v[104:105], v[104:105], v[110:111]
	v_pk_mul_f32 v[110:111], v[66:67], s[24:25] op_sel_hi:[1,0]
	v_pk_fma_f32 v[132:133], v[68:69], s[0:1], v[130:131] op_sel:[0,0,1] op_sel_hi:[1,0,0]
	v_pk_fma_f32 v[112:113], v[64:65], s[4:5], v[110:111] op_sel:[0,0,1] op_sel_hi:[1,0,0]
	v_pk_fma_f32 v[110:111], v[64:65], s[4:5], v[110:111] op_sel:[0,0,1] op_sel_hi:[1,0,0] neg_lo:[0,0,1] neg_hi:[0,0,1]
	v_mov_b32_e32 v114, v112
	v_mov_b32_e32 v115, v111
	v_pk_add_f32 v[104:105], v[104:105], v[114:115]
	v_pk_mul_f32 v[114:115], v[62:63], s[22:23] op_sel_hi:[1,0]
	s_mov_b32 s22, 0x3e750f2a
	v_pk_fma_f32 v[116:117], v[56:57], s[0:1], v[114:115] op_sel:[0,0,1] op_sel_hi:[1,0,0]
	v_pk_fma_f32 v[114:115], v[56:57], s[0:1], v[114:115] op_sel:[0,0,1] op_sel_hi:[1,0,0] neg_lo:[0,0,1] neg_hi:[0,0,1]
	v_mov_b32_e32 v118, v116
	v_mov_b32_e32 v119, v115
	v_pk_add_f32 v[104:105], v[104:105], v[118:119]
	v_pk_mul_f32 v[118:119], v[54:55], s[22:23] op_sel_hi:[1,0]
	v_pk_fma_f32 v[130:131], v[68:69], s[0:1], v[130:131] op_sel:[0,0,1] op_sel_hi:[1,0,0] neg_lo:[0,0,1] neg_hi:[0,0,1]
	v_pk_fma_f32 v[120:121], v[52:53], s[16:17], v[118:119] op_sel:[0,0,1] op_sel_hi:[1,0,0]
	v_pk_fma_f32 v[118:119], v[52:53], s[16:17], v[118:119] op_sel:[0,0,1] op_sel_hi:[1,0,0] neg_lo:[0,0,1] neg_hi:[0,0,1]
	v_mov_b32_e32 v122, v120
	v_mov_b32_e32 v123, v119
	v_pk_add_f32 v[104:105], v[104:105], v[122:123]
	v_pk_mul_f32 v[122:123], v[46:47], s[26:27] op_sel_hi:[1,0]
	v_mov_b32_e32 v134, v132
	v_pk_fma_f32 v[124:125], v[44:45], s[2:3], v[122:123] op_sel:[0,0,1] op_sel_hi:[1,0,0]
	v_pk_fma_f32 v[122:123], v[44:45], s[2:3], v[122:123] op_sel:[0,0,1] op_sel_hi:[1,0,0] neg_lo:[0,0,1] neg_hi:[0,0,1]
	v_mov_b32_e32 v126, v124
	v_mov_b32_e32 v127, v123
	v_pk_add_f32 v[104:105], v[104:105], v[126:127]
	global_store_dwordx2 v[0:1], v[104:105], off offset:3264
	v_pk_mul_f32 v[104:105], v[70:71], s[12:13] op_sel_hi:[1,0]
	v_mov_b32_e32 v135, v131
	v_pk_fma_f32 v[126:127], v[72:73], s[10:11], v[104:105] op_sel:[0,0,1] op_sel_hi:[1,0,0]
	v_pk_fma_f32 v[104:105], v[72:73], s[10:11], v[104:105] op_sel:[0,0,1] op_sel_hi:[1,0,0] neg_lo:[0,0,1] neg_hi:[0,0,1]
	v_mov_b32_e32 v128, v126
	v_mov_b32_e32 v129, v105
	v_pk_add_f32 v[128:129], v[6:7], v[128:129]
	v_pk_mul_f32 v[70:71], v[70:71], s[18:19] op_sel_hi:[1,0]
	v_pk_add_f32 v[128:129], v[128:129], v[134:135]
	v_pk_mul_f32 v[134:135], v[66:67], s[14:15] op_sel_hi:[1,0]
	v_pk_mul_f32 v[66:67], v[66:67], s[12:13] op_sel_hi:[1,0]
	v_pk_fma_f32 v[136:137], v[64:65], s[2:3], v[134:135] op_sel:[0,0,1] op_sel_hi:[1,0,0]
	v_pk_fma_f32 v[134:135], v[64:65], s[2:3], v[134:135] op_sel:[0,0,1] op_sel_hi:[1,0,0] neg_lo:[0,0,1] neg_hi:[0,0,1]
	v_mov_b32_e32 v138, v136
	v_mov_b32_e32 v139, v135
	v_pk_add_f32 v[128:129], v[128:129], v[138:139]
	v_pk_mul_f32 v[138:139], v[62:63], s[22:23] op_sel_hi:[1,0]
	v_pk_mul_f32 v[62:63], v[62:63], s[26:27] op_sel_hi:[1,0]
	v_pk_fma_f32 v[140:141], v[56:57], s[16:17], v[138:139] op_sel:[0,0,1] op_sel_hi:[1,0,0]
	v_pk_fma_f32 v[138:139], v[56:57], s[16:17], v[138:139] op_sel:[0,0,1] op_sel_hi:[1,0,0] neg_lo:[0,0,1] neg_hi:[0,0,1]
	v_mov_b32_e32 v142, v140
	v_mov_b32_e32 v143, v139
	;; [unrolled: 7-line block ×4, first 2 shown]
	v_pk_add_f32 v[128:129], v[128:129], v[150:151]
	global_store_dwordx2 v[0:1], v[128:129], off offset:4080
	v_pk_fma_f32 v[128:129], v[72:73], s[16:17], v[70:71] op_sel:[0,0,1] op_sel_hi:[1,0,0]
	v_pk_fma_f32 v[70:71], v[72:73], s[16:17], v[70:71] op_sel:[0,0,1] op_sel_hi:[1,0,0] neg_lo:[0,0,1] neg_hi:[0,0,1]
	v_pk_mul_f32 v[72:73], v[74:75], s[24:25] op_sel_hi:[1,0]
	v_mov_b32_e32 v105, v127
	v_pk_fma_f32 v[74:75], v[68:69], s[4:5], v[72:73] op_sel:[0,0,1] op_sel_hi:[1,0,0]
	v_pk_fma_f32 v[68:69], v[68:69], s[4:5], v[72:73] op_sel:[0,0,1] op_sel_hi:[1,0,0] neg_lo:[0,0,1] neg_hi:[0,0,1]
	v_mov_b32_e32 v72, v128
	v_mov_b32_e32 v73, v71
	v_pk_add_f32 v[72:73], v[6:7], v[72:73]
	v_mov_b32_e32 v150, v74
	v_mov_b32_e32 v151, v69
	v_pk_add_f32 v[72:73], v[72:73], v[150:151]
	v_pk_fma_f32 v[150:151], v[64:65], s[10:11], v[66:67] op_sel:[0,0,1] op_sel_hi:[1,0,0]
	v_pk_fma_f32 v[64:65], v[64:65], s[10:11], v[66:67] op_sel:[0,0,1] op_sel_hi:[1,0,0] neg_lo:[0,0,1] neg_hi:[0,0,1]
	v_mov_b32_e32 v66, v150
	v_mov_b32_e32 v67, v65
	v_pk_add_f32 v[66:67], v[72:73], v[66:67]
	v_pk_fma_f32 v[72:73], v[56:57], s[2:3], v[62:63] op_sel:[0,0,1] op_sel_hi:[1,0,0]
	v_pk_fma_f32 v[56:57], v[56:57], s[2:3], v[62:63] op_sel:[0,0,1] op_sel_hi:[1,0,0] neg_lo:[0,0,1] neg_hi:[0,0,1]
	;; [unrolled: 5-line block ×4, first 2 shown]
	v_mov_b32_e32 v46, v62
	v_mov_b32_e32 v47, v45
	s_movk_i32 s0, 0x1000
	v_pk_add_f32 v[46:47], v[54:55], v[46:47]
	v_add_co_u32_e32 v54, vcc, s0, v0
	v_mov_b32_e32 v71, v129
	s_nop 0
	v_addc_co_u32_e32 v55, vcc, 0, v1, vcc
	global_store_dwordx2 v[54:55], v[46:47], off offset:800
	v_mov_b32_e32 v69, v75
	v_pk_add_f32 v[46:47], v[6:7], v[70:71]
	v_mov_b32_e32 v65, v151
	v_pk_add_f32 v[46:47], v[46:47], v[68:69]
	;; [unrolled: 2-line block ×6, first 2 shown]
	global_store_dwordx2 v[54:55], v[44:45], off offset:1616
	v_pk_add_f32 v[44:45], v[6:7], v[104:105]
	v_mov_b32_e32 v135, v137
	v_pk_add_f32 v[44:45], v[44:45], v[130:131]
	v_mov_b32_e32 v139, v141
	;; [unrolled: 2-line block ×5, first 2 shown]
	v_pk_add_f32 v[44:45], v[44:45], v[146:147]
	global_store_dwordx2 v[54:55], v[44:45], off offset:2432
	v_pk_add_f32 v[44:45], v[6:7], v[80:81]
	v_mov_b32_e32 v107, v109
	v_pk_add_f32 v[44:45], v[44:45], v[106:107]
	v_mov_b32_e32 v111, v113
	;; [unrolled: 2-line block ×6, first 2 shown]
	v_mov_b32_e32 v31, v29
	v_mov_b32_e32 v5, v3
	global_store_dwordx2 v[54:55], v[44:45], off offset:3248
	v_pk_add_f32 v[44:45], v[6:7], v[76:77]
	v_mov_b32_e32 v83, v85
	v_pk_add_f32 v[28:29], v[6:7], v[30:31]
	v_mov_b32_e32 v35, v33
	;; [unrolled: 2-line block ×11, first 2 shown]
	s_movk_i32 s0, 0x2000
	v_pk_add_f32 v[2:3], v[2:3], v[18:19]
	v_mov_b32_e32 v23, v21
	v_pk_add_f32 v[44:45], v[44:45], v[94:95]
	v_mov_b32_e32 v99, v101
	;; [unrolled: 2-line block ×3, first 2 shown]
	v_add_co_u32_e32 v0, vcc, s0, v0
	v_pk_add_f32 v[2:3], v[2:3], v[22:23]
	v_mov_b32_e32 v27, v25
	v_pk_add_f32 v[44:45], v[44:45], v[98:99]
	v_pk_add_f32 v[28:29], v[28:29], v[60:61]
	v_addc_co_u32_e32 v1, vcc, 0, v1, vcc
	v_pk_add_f32 v[2:3], v[2:3], v[26:27]
	global_store_dwordx2 v[54:55], v[44:45], off offset:4064
	global_store_dwordx2 v[0:1], v[28:29], off offset:784
	;; [unrolled: 1-line block ×3, first 2 shown]
.LBB0_27:
	s_endpgm
	.section	.rodata,"a",@progbits
	.p2align	6, 0x0
	.amdhsa_kernel fft_rtc_back_len1326_factors_17_6_13_wgs_204_tpt_102_halfLds_sp_ip_CI_unitstride_sbrr_dirReg
		.amdhsa_group_segment_fixed_size 0
		.amdhsa_private_segment_fixed_size 0
		.amdhsa_kernarg_size 88
		.amdhsa_user_sgpr_count 2
		.amdhsa_user_sgpr_dispatch_ptr 0
		.amdhsa_user_sgpr_queue_ptr 0
		.amdhsa_user_sgpr_kernarg_segment_ptr 1
		.amdhsa_user_sgpr_dispatch_id 0
		.amdhsa_user_sgpr_kernarg_preload_length 0
		.amdhsa_user_sgpr_kernarg_preload_offset 0
		.amdhsa_user_sgpr_private_segment_size 0
		.amdhsa_uses_dynamic_stack 0
		.amdhsa_enable_private_segment 0
		.amdhsa_system_sgpr_workgroup_id_x 1
		.amdhsa_system_sgpr_workgroup_id_y 0
		.amdhsa_system_sgpr_workgroup_id_z 0
		.amdhsa_system_sgpr_workgroup_info 0
		.amdhsa_system_vgpr_workitem_id 0
		.amdhsa_next_free_vgpr 152
		.amdhsa_next_free_sgpr 66
		.amdhsa_accum_offset 152
		.amdhsa_reserve_vcc 1
		.amdhsa_float_round_mode_32 0
		.amdhsa_float_round_mode_16_64 0
		.amdhsa_float_denorm_mode_32 3
		.amdhsa_float_denorm_mode_16_64 3
		.amdhsa_dx10_clamp 1
		.amdhsa_ieee_mode 1
		.amdhsa_fp16_overflow 0
		.amdhsa_tg_split 0
		.amdhsa_exception_fp_ieee_invalid_op 0
		.amdhsa_exception_fp_denorm_src 0
		.amdhsa_exception_fp_ieee_div_zero 0
		.amdhsa_exception_fp_ieee_overflow 0
		.amdhsa_exception_fp_ieee_underflow 0
		.amdhsa_exception_fp_ieee_inexact 0
		.amdhsa_exception_int_div_zero 0
	.end_amdhsa_kernel
	.text
.Lfunc_end0:
	.size	fft_rtc_back_len1326_factors_17_6_13_wgs_204_tpt_102_halfLds_sp_ip_CI_unitstride_sbrr_dirReg, .Lfunc_end0-fft_rtc_back_len1326_factors_17_6_13_wgs_204_tpt_102_halfLds_sp_ip_CI_unitstride_sbrr_dirReg
                                        ; -- End function
	.section	.AMDGPU.csdata,"",@progbits
; Kernel info:
; codeLenInByte = 12216
; NumSgprs: 72
; NumVgprs: 152
; NumAgprs: 0
; TotalNumVgprs: 152
; ScratchSize: 0
; MemoryBound: 0
; FloatMode: 240
; IeeeMode: 1
; LDSByteSize: 0 bytes/workgroup (compile time only)
; SGPRBlocks: 8
; VGPRBlocks: 18
; NumSGPRsForWavesPerEU: 72
; NumVGPRsForWavesPerEU: 152
; AccumOffset: 152
; Occupancy: 3
; WaveLimiterHint : 1
; COMPUTE_PGM_RSRC2:SCRATCH_EN: 0
; COMPUTE_PGM_RSRC2:USER_SGPR: 2
; COMPUTE_PGM_RSRC2:TRAP_HANDLER: 0
; COMPUTE_PGM_RSRC2:TGID_X_EN: 1
; COMPUTE_PGM_RSRC2:TGID_Y_EN: 0
; COMPUTE_PGM_RSRC2:TGID_Z_EN: 0
; COMPUTE_PGM_RSRC2:TIDIG_COMP_CNT: 0
; COMPUTE_PGM_RSRC3_GFX90A:ACCUM_OFFSET: 37
; COMPUTE_PGM_RSRC3_GFX90A:TG_SPLIT: 0
	.text
	.p2alignl 6, 3212836864
	.fill 256, 4, 3212836864
	.type	__hip_cuid_d460d3fc06c16f48,@object ; @__hip_cuid_d460d3fc06c16f48
	.section	.bss,"aw",@nobits
	.globl	__hip_cuid_d460d3fc06c16f48
__hip_cuid_d460d3fc06c16f48:
	.byte	0                               ; 0x0
	.size	__hip_cuid_d460d3fc06c16f48, 1

	.ident	"AMD clang version 19.0.0git (https://github.com/RadeonOpenCompute/llvm-project roc-6.4.0 25133 c7fe45cf4b819c5991fe208aaa96edf142730f1d)"
	.section	".note.GNU-stack","",@progbits
	.addrsig
	.addrsig_sym __hip_cuid_d460d3fc06c16f48
	.amdgpu_metadata
---
amdhsa.kernels:
  - .agpr_count:     0
    .args:
      - .actual_access:  read_only
        .address_space:  global
        .offset:         0
        .size:           8
        .value_kind:     global_buffer
      - .offset:         8
        .size:           8
        .value_kind:     by_value
      - .actual_access:  read_only
        .address_space:  global
        .offset:         16
        .size:           8
        .value_kind:     global_buffer
      - .actual_access:  read_only
        .address_space:  global
        .offset:         24
        .size:           8
        .value_kind:     global_buffer
      - .offset:         32
        .size:           8
        .value_kind:     by_value
      - .actual_access:  read_only
        .address_space:  global
        .offset:         40
        .size:           8
        .value_kind:     global_buffer
      - .actual_access:  read_only
        .address_space:  global
        .offset:         48
        .size:           8
        .value_kind:     global_buffer
      - .offset:         56
        .size:           4
        .value_kind:     by_value
      - .actual_access:  read_only
        .address_space:  global
        .offset:         64
        .size:           8
        .value_kind:     global_buffer
      - .actual_access:  read_only
        .address_space:  global
        .offset:         72
        .size:           8
        .value_kind:     global_buffer
      - .address_space:  global
        .offset:         80
        .size:           8
        .value_kind:     global_buffer
    .group_segment_fixed_size: 0
    .kernarg_segment_align: 8
    .kernarg_segment_size: 88
    .language:       OpenCL C
    .language_version:
      - 2
      - 0
    .max_flat_workgroup_size: 204
    .name:           fft_rtc_back_len1326_factors_17_6_13_wgs_204_tpt_102_halfLds_sp_ip_CI_unitstride_sbrr_dirReg
    .private_segment_fixed_size: 0
    .sgpr_count:     72
    .sgpr_spill_count: 0
    .symbol:         fft_rtc_back_len1326_factors_17_6_13_wgs_204_tpt_102_halfLds_sp_ip_CI_unitstride_sbrr_dirReg.kd
    .uniform_work_group_size: 1
    .uses_dynamic_stack: false
    .vgpr_count:     152
    .vgpr_spill_count: 0
    .wavefront_size: 64
amdhsa.target:   amdgcn-amd-amdhsa--gfx950
amdhsa.version:
  - 1
  - 2
...

	.end_amdgpu_metadata
